;; amdgpu-corpus repo=ROCm/aiter kind=harvested arch=n/a opt=n/a

/root/src/amdgpu-assembly/repos/ROCm__aiter/hsa/gfx942/fmoe_2stages/fmoe_stage1_bf16_pertokenFp8_blockscale_g1u1_32x512_pf2.co:	file format elf64-amdgpu

Disassembly of section .text:

0000000000002a00 <_ZN5aiter55fmoe_stage1_bf16_pertokenFp8_blockscale_g1u1_32x512_pf2E>:
	s_and_b32 s1, s1, 0xffff                                   // 000000002A00: 8601FF01 0000FFFF
	s_load_dwordx2 s[8:9], s[0:1], 0x0                         // 000000002A08: C0060200 00000000
	s_load_dwordx2 s[20:21], s[0:1], 0x10                      // 000000002A10: C0060500 00000010
	s_load_dwordx2 s[24:25], s[0:1], 0x20                      // 000000002A18: C0060600 00000020
	s_load_dwordx2 s[48:49], s[0:1], 0x30                      // 000000002A20: C0060C00 00000030
	s_load_dwordx2 s[28:29], s[0:1], 0x40                      // 000000002A28: C0060700 00000040
	s_load_dwordx2 s[32:33], s[0:1], 0x50                      // 000000002A30: C0060800 00000050
	s_load_dwordx2 s[36:37], s[0:1], 0x60                      // 000000002A38: C0060900 00000060
	s_load_dwordx2 s[12:13], s[0:1], 0x70                      // 000000002A40: C0060300 00000070
	s_load_dwordx2 s[44:45], s[0:1], 0x80                      // 000000002A48: C0060B00 00000080
	s_mov_b32 s89, 0                                           // 000000002A50: BED90080
	s_load_dword s64, s[0:1], 0x90                             // 000000002A54: C0021000 00000090
	s_load_dword s65, s[0:1], 0xa0                             // 000000002A5C: C0021040 000000A0
	s_load_dword s66, s[0:1], 0xb0                             // 000000002A64: C0021080 000000B0
	s_load_dword s67, s[0:1], 0xc0                             // 000000002A6C: C00210C0 000000C0
	s_load_dword s68, s[0:1], 0xd0                             // 000000002A74: C0021100 000000D0
	s_load_dword s69, s[0:1], 0xe0                             // 000000002A7C: C0021140 000000E0
	s_load_dword s71, s[0:1], 0xf0                             // 000000002A84: C00211C0 000000F0
	s_load_dword s72, s[0:1], 0x100                            // 000000002A8C: C0021200 00000100
	s_load_dword s74, s[0:1], 0x110                            // 000000002A94: C0021280 00000110
	s_load_dword s76, s[0:1], 0x120                            // 000000002A9C: C0021300 00000120
	s_load_dword s56, s[0:1], 0x130                            // 000000002AA4: C0020E00 00000130
	s_load_dword s88, s[0:1], 0x140                            // 000000002AAC: C0021600 00000140
	s_load_dword s89, s[0:1], 0x150                            // 000000002AB4: C0021640 00000150
	v_lshrrev_b32_e32 v1, 10, v0                               // 000000002ABC: 2002008A
	v_lshrrev_b32_e32 v2, 10, v1                               // 000000002AC0: 2004028A
	v_and_b32_e32 v2, 0x3ff, v2                                // 000000002AC4: 260404FF 000003FF
	v_and_b32_e32 v1, 0x3ff, v1                                // 000000002ACC: 260202FF 000003FF
	v_and_b32_e32 v0, 0x3ff, v0                                // 000000002AD4: 260000FF 000003FF
	v_lshrrev_b32_e32 v3, 6, v0                                // 000000002ADC: 20060086
	v_and_b32_e32 v0, 63, v0                                   // 000000002AE0: 260000BF
	s_mov_b32 s2, s2                                           // 000000002AE4: BE820002
	s_mov_b32 s3, s3                                           // 000000002AE8: BE830003
	s_mov_b32 s4, s4                                           // 000000002AEC: BE840004
	v_readfirstlane_b32 s7, v3                                 // 000000002AF0: 7E0E0503
	s_waitcnt lgkmcnt(0)                                       // 000000002AF4: BF8CC07F
	s_and_b32 s49, s49, 0xffff                                 // 000000002AF8: 8631FF31 0000FFFF
	s_load_dword s48, s[48:49], 0x0                            // 000000002B00: C0020C18 00000000
	s_and_b32 s45, s45, 0xffff                                 // 000000002B08: 862DFF2D 0000FFFF
	s_and_b32 s9, s9, 0xffff                                   // 000000002B10: 8609FF09 0000FFFF
	s_mul_i32 s60, s66, s68                                    // 000000002B18: 923C4442
	s_mul_i32 s61, s66, 4                                      // 000000002B1C: 923D8442
	s_mov_b32 s22, s60                                         // 000000002B20: BE96003C
	s_mov_b32 s26, -16                                         // 000000002B24: BE9A00D0
	s_mov_b32 s30, s61                                         // 000000002B28: BE9E003D
	s_mov_b32 s14, 0x80                                        // 000000002B2C: BE8E00FF 00000080
	s_mov_b32 s38, -16                                         // 000000002B34: BEA600D0
	s_mov_b32 s10, -16                                         // 000000002B38: BE8A00D0
	s_lshr_b32 s60, s64, 7                                     // 000000002B3C: 8F3C8740
	s_mul_i32 s61, s60, 4                                      // 000000002B40: 923D843C
	s_lshr_b32 s60, s65, 7                                     // 000000002B44: 8F3C8741
	s_add_u32 s60, s60, 4                                      // 000000002B48: 803C843C
	s_mul_i32 s60, s60, s61                                    // 000000002B4C: 923C3D3C
	s_mov_b32 s34, s60                                         // 000000002B50: BEA2003C
	s_mov_b32 s23, 0x20000                                     // 000000002B54: BE9700FF 00020000
	s_mov_b32 s27, 0x20000                                     // 000000002B5C: BE9B00FF 00020000
	s_mov_b32 s31, 0x20000                                     // 000000002B64: BE9F00FF 00020000
	s_mov_b32 s35, 0x20000                                     // 000000002B6C: BEA300FF 00020000
	s_mov_b32 s15, 0x20000                                     // 000000002B74: BE8F00FF 00020000
	s_mov_b32 s39, 0x20000                                     // 000000002B7C: BEA700FF 00020000
	s_mov_b32 s11, 0x20000                                     // 000000002B84: BE8B00FF 00020000
	s_and_b32 s21, s21, 0xffff                                 // 000000002B8C: 8615FF15 0000FFFF
	s_and_b32 s25, s25, 0xffff                                 // 000000002B94: 8619FF19 0000FFFF
	s_and_b32 s29, s29, 0xffff                                 // 000000002B9C: 861DFF1D 0000FFFF
	s_and_b32 s33, s33, 0xffff                                 // 000000002BA4: 8621FF21 0000FFFF
	s_and_b32 s13, s13, 0xffff                                 // 000000002BAC: 860DFF0D 0000FFFF
	s_and_b32 s37, s37, 0xffff                                 // 000000002BB4: 8625FF25 0000FFFF
	s_or_b32 s21, s21, 0x40000                                 // 000000002BBC: 8715FF15 00040000
	s_or_b32 s25, s25, 0x40000                                 // 000000002BC4: 8719FF19 00040000
	s_or_b32 s29, s29, 0x40000                                 // 000000002BCC: 871DFF1D 00040000
	s_or_b32 s33, s33, 0x40000                                 // 000000002BD4: 8721FF21 00040000
	s_or_b32 s13, s13, 0x40000                                 // 000000002BDC: 870DFF0D 00040000
	s_or_b32 s37, s37, 0x40000                                 // 000000002BE4: 8725FF25 00040000
	v_accvgpr_write_b32 a159, 0                                // 000000002BEC: D3D9409F 18000080
	v_mov_b32_e32 v175, 0                                      // 000000002BF4: 7F5E0280
	s_waitcnt lgkmcnt(0)                                       // 000000002BF8: BF8CC07F
	s_mul_i32 s60, s3, 32                                      // 000000002BFC: 923CA003
	s_cmp_lt_i32 s60, s48                                      // 000000002C00: BF04303C
	s_cbranch_scc0 label_267C                                  // 000000002C04: BF8425F7
	s_mov_b32 s80, 0                                           // 000000002C08: BED00080
	s_lshr_b32 s81, s64, s88                                   // 000000002C0C: 8F515840
	s_mul_i32 s60, s3, 4                                       // 000000002C10: 923C8403
	s_add_u32 s44, s60, s44                                    // 000000002C14: 802C2C3C
	s_addc_u32 s45, 0, s45                                     // 000000002C18: 822D2D80
	s_load_dword s5, s[44:45], 0x0                             // 000000002C1C: C0020156 00000000
	s_mul_i32 s60, s3, 32                                      // 000000002C24: 923CA003
	s_mul_i32 s60, 4, s60                                      // 000000002C28: 923C3C84
	s_add_u32 s12, s60, s12                                    // 000000002C2C: 800C0C3C
	s_addc_u32 s13, 0, s13                                     // 000000002C30: 820D0D80
	v_and_b32_e32 v4, 15, v0                                   // 000000002C34: 2608008F
	v_lshlrev_b32_e32 v4, 2, v4                                // 000000002C38: 24080882
	buffer_load_dword v28, v4, s[12:15], 0 offen               // 000000002C3C: E0501000 80031C04
	v_add_u32_e32 v4, 64, v4                                   // 000000002C44: 680808C0
	buffer_load_dword v29, v4, s[12:15], 0 offen               // 000000002C48: E0501000 80031D04
	v_add_u32_e32 v4, 64, v4                                   // 000000002C50: 680808C0
	s_mul_i32 s60, 4, s7                                       // 000000002C54: 923C0784
	v_lshlrev_b32_e32 v4, 4, v0                                // 000000002C58: 24080084
	v_add_u32_e32 v4, s60, v4                                  // 000000002C5C: 6808083C
	buffer_load_dword v3, v4, s[12:15], 0 offen                // 000000002C60: E0501000 80030304
	v_mov_b32_e32 v48, 0                                       // 000000002C68: 7E600280
	v_mov_b32_e32 v112, 0                                      // 000000002C6C: 7EE00280
	v_mov_b32_e32 v49, 0                                       // 000000002C70: 7E620280
	v_mov_b32_e32 v113, 0                                      // 000000002C74: 7EE20280
	v_mov_b32_e32 v50, 0                                       // 000000002C78: 7E640280
	v_mov_b32_e32 v114, 0                                      // 000000002C7C: 7EE40280
	v_mov_b32_e32 v51, 0                                       // 000000002C80: 7E660280
	v_mov_b32_e32 v115, 0                                      // 000000002C84: 7EE60280
	v_mov_b32_e32 v52, 0                                       // 000000002C88: 7E680280
	v_mov_b32_e32 v116, 0                                      // 000000002C8C: 7EE80280
	v_mov_b32_e32 v53, 0                                       // 000000002C90: 7E6A0280
	v_mov_b32_e32 v117, 0                                      // 000000002C94: 7EEA0280
	v_mov_b32_e32 v54, 0                                       // 000000002C98: 7E6C0280
	v_mov_b32_e32 v118, 0                                      // 000000002C9C: 7EEC0280
	v_mov_b32_e32 v55, 0                                       // 000000002CA0: 7E6E0280
	v_mov_b32_e32 v119, 0                                      // 000000002CA4: 7EEE0280
	v_mov_b32_e32 v56, 0                                       // 000000002CA8: 7E700280
	v_mov_b32_e32 v120, 0                                      // 000000002CAC: 7EF00280
	v_mov_b32_e32 v57, 0                                       // 000000002CB0: 7E720280
	v_mov_b32_e32 v121, 0                                      // 000000002CB4: 7EF20280
	v_mov_b32_e32 v58, 0                                       // 000000002CB8: 7E740280
	v_mov_b32_e32 v122, 0                                      // 000000002CBC: 7EF40280
	v_mov_b32_e32 v59, 0                                       // 000000002CC0: 7E760280
	v_mov_b32_e32 v123, 0                                      // 000000002CC4: 7EF60280
	v_mov_b32_e32 v60, 0                                       // 000000002CC8: 7E780280
	v_mov_b32_e32 v124, 0                                      // 000000002CCC: 7EF80280
	v_mov_b32_e32 v61, 0                                       // 000000002CD0: 7E7A0280
	v_mov_b32_e32 v125, 0                                      // 000000002CD4: 7EFA0280
	v_mov_b32_e32 v62, 0                                       // 000000002CD8: 7E7C0280
	v_mov_b32_e32 v126, 0                                      // 000000002CDC: 7EFC0280
	v_mov_b32_e32 v63, 0                                       // 000000002CE0: 7E7E0280
	v_mov_b32_e32 v127, 0                                      // 000000002CE4: 7EFE0280
	v_mov_b32_e32 v64, 0                                       // 000000002CE8: 7E800280
	v_mov_b32_e32 v128, 0                                      // 000000002CEC: 7F000280
	v_mov_b32_e32 v65, 0                                       // 000000002CF0: 7E820280
	v_mov_b32_e32 v129, 0                                      // 000000002CF4: 7F020280
	v_mov_b32_e32 v66, 0                                       // 000000002CF8: 7E840280
	v_mov_b32_e32 v130, 0                                      // 000000002CFC: 7F040280
	v_mov_b32_e32 v67, 0                                       // 000000002D00: 7E860280
	v_mov_b32_e32 v131, 0                                      // 000000002D04: 7F060280
	v_mov_b32_e32 v68, 0                                       // 000000002D08: 7E880280
	v_mov_b32_e32 v132, 0                                      // 000000002D0C: 7F080280
	v_mov_b32_e32 v69, 0                                       // 000000002D10: 7E8A0280
	v_mov_b32_e32 v133, 0                                      // 000000002D14: 7F0A0280
	v_mov_b32_e32 v70, 0                                       // 000000002D18: 7E8C0280
	v_mov_b32_e32 v134, 0                                      // 000000002D1C: 7F0C0280
	v_mov_b32_e32 v71, 0                                       // 000000002D20: 7E8E0280
	v_mov_b32_e32 v135, 0                                      // 000000002D24: 7F0E0280
	v_mov_b32_e32 v72, 0                                       // 000000002D28: 7E900280
	v_mov_b32_e32 v136, 0                                      // 000000002D2C: 7F100280
	v_mov_b32_e32 v73, 0                                       // 000000002D30: 7E920280
	v_mov_b32_e32 v137, 0                                      // 000000002D34: 7F120280
	v_mov_b32_e32 v74, 0                                       // 000000002D38: 7E940280
	v_mov_b32_e32 v138, 0                                      // 000000002D3C: 7F140280
	v_mov_b32_e32 v75, 0                                       // 000000002D40: 7E960280
	v_mov_b32_e32 v139, 0                                      // 000000002D44: 7F160280
	v_mov_b32_e32 v76, 0                                       // 000000002D48: 7E980280
	v_mov_b32_e32 v140, 0                                      // 000000002D4C: 7F180280
	v_mov_b32_e32 v77, 0                                       // 000000002D50: 7E9A0280
	v_mov_b32_e32 v141, 0                                      // 000000002D54: 7F1A0280
	v_mov_b32_e32 v78, 0                                       // 000000002D58: 7E9C0280
	v_mov_b32_e32 v142, 0                                      // 000000002D5C: 7F1C0280
	v_mov_b32_e32 v79, 0                                       // 000000002D60: 7E9E0280
	v_mov_b32_e32 v143, 0                                      // 000000002D64: 7F1E0280
	v_mov_b32_e32 v80, 0                                       // 000000002D68: 7EA00280
	v_mov_b32_e32 v144, 0                                      // 000000002D6C: 7F200280
	v_mov_b32_e32 v81, 0                                       // 000000002D70: 7EA20280
	v_mov_b32_e32 v145, 0                                      // 000000002D74: 7F220280
	v_mov_b32_e32 v82, 0                                       // 000000002D78: 7EA40280
	v_mov_b32_e32 v146, 0                                      // 000000002D7C: 7F240280
	v_mov_b32_e32 v83, 0                                       // 000000002D80: 7EA60280
	v_mov_b32_e32 v147, 0                                      // 000000002D84: 7F260280
	v_mov_b32_e32 v84, 0                                       // 000000002D88: 7EA80280
	v_mov_b32_e32 v148, 0                                      // 000000002D8C: 7F280280
	v_mov_b32_e32 v85, 0                                       // 000000002D90: 7EAA0280
	v_mov_b32_e32 v149, 0                                      // 000000002D94: 7F2A0280
	v_mov_b32_e32 v86, 0                                       // 000000002D98: 7EAC0280
	v_mov_b32_e32 v150, 0                                      // 000000002D9C: 7F2C0280
	v_mov_b32_e32 v87, 0                                       // 000000002DA0: 7EAE0280
	v_mov_b32_e32 v151, 0                                      // 000000002DA4: 7F2E0280
	v_mov_b32_e32 v88, 0                                       // 000000002DA8: 7EB00280
	v_mov_b32_e32 v152, 0                                      // 000000002DAC: 7F300280
	v_mov_b32_e32 v89, 0                                       // 000000002DB0: 7EB20280
	v_mov_b32_e32 v153, 0                                      // 000000002DB4: 7F320280
	v_mov_b32_e32 v90, 0                                       // 000000002DB8: 7EB40280
	v_mov_b32_e32 v154, 0                                      // 000000002DBC: 7F340280
	v_mov_b32_e32 v91, 0                                       // 000000002DC0: 7EB60280
	v_mov_b32_e32 v155, 0                                      // 000000002DC4: 7F360280
	v_mov_b32_e32 v92, 0                                       // 000000002DC8: 7EB80280
	v_mov_b32_e32 v156, 0                                      // 000000002DCC: 7F380280
	v_mov_b32_e32 v93, 0                                       // 000000002DD0: 7EBA0280
	v_mov_b32_e32 v157, 0                                      // 000000002DD4: 7F3A0280
	v_mov_b32_e32 v94, 0                                       // 000000002DD8: 7EBC0280
	v_mov_b32_e32 v158, 0                                      // 000000002DDC: 7F3C0280
	v_mov_b32_e32 v95, 0                                       // 000000002DE0: 7EBE0280
	v_mov_b32_e32 v159, 0                                      // 000000002DE4: 7F3E0280
	v_mov_b32_e32 v96, 0                                       // 000000002DE8: 7EC00280
	v_mov_b32_e32 v160, 0                                      // 000000002DEC: 7F400280
	v_mov_b32_e32 v97, 0                                       // 000000002DF0: 7EC20280
	v_mov_b32_e32 v161, 0                                      // 000000002DF4: 7F420280
	v_mov_b32_e32 v98, 0                                       // 000000002DF8: 7EC40280
	v_mov_b32_e32 v162, 0                                      // 000000002DFC: 7F440280
	v_mov_b32_e32 v99, 0                                       // 000000002E00: 7EC60280
	v_mov_b32_e32 v163, 0                                      // 000000002E04: 7F460280
	v_mov_b32_e32 v100, 0                                      // 000000002E08: 7EC80280
	v_mov_b32_e32 v164, 0                                      // 000000002E0C: 7F480280
	v_mov_b32_e32 v101, 0                                      // 000000002E10: 7ECA0280
	v_mov_b32_e32 v165, 0                                      // 000000002E14: 7F4A0280
	v_mov_b32_e32 v102, 0                                      // 000000002E18: 7ECC0280
	v_mov_b32_e32 v166, 0                                      // 000000002E1C: 7F4C0280
	v_mov_b32_e32 v103, 0                                      // 000000002E20: 7ECE0280
	v_mov_b32_e32 v167, 0                                      // 000000002E24: 7F4E0280
	v_mov_b32_e32 v104, 0                                      // 000000002E28: 7ED00280
	v_mov_b32_e32 v168, 0                                      // 000000002E2C: 7F500280
	v_mov_b32_e32 v105, 0                                      // 000000002E30: 7ED20280
	v_mov_b32_e32 v169, 0                                      // 000000002E34: 7F520280
	v_mov_b32_e32 v106, 0                                      // 000000002E38: 7ED40280
	v_mov_b32_e32 v170, 0                                      // 000000002E3C: 7F540280
	v_mov_b32_e32 v107, 0                                      // 000000002E40: 7ED60280
	v_mov_b32_e32 v171, 0                                      // 000000002E44: 7F560280
	v_mov_b32_e32 v108, 0                                      // 000000002E48: 7ED80280
	v_mov_b32_e32 v172, 0                                      // 000000002E4C: 7F580280
	v_mov_b32_e32 v109, 0                                      // 000000002E50: 7EDA0280
	v_mov_b32_e32 v173, 0                                      // 000000002E54: 7F5A0280
	v_mov_b32_e32 v110, 0                                      // 000000002E58: 7EDC0280
	v_mov_b32_e32 v174, 0                                      // 000000002E5C: 7F5C0280
	v_mov_b32_e32 v111, 0                                      // 000000002E60: 7EDE0280
	v_mov_b32_e32 v175, 0                                      // 000000002E64: 7F5E0280
	s_mul_i32 s60, s2, 0x200                                   // 000000002E68: 923CFF02 00000200
	s_cmp_eq_u32 s88, 0                                        // 000000002E70: BF068058
	s_cselect_b32 s61, 1, 4                                    // 000000002E74: 853D8481
	s_mul_i32 s60, s60, s61                                    // 000000002E78: 923C3D3C
	s_mov_b32 s90, s8                                          // 000000002E7C: BEDA0008
	s_mov_b32 s91, s9                                          // 000000002E80: BEDB0009
	s_add_u32 s8, s60, s8                                      // 000000002E84: 8008083C
	s_addc_u32 s9, 0, s9                                       // 000000002E88: 82090980
	v_lshrrev_b32_e32 v4, 4, v0                                // 000000002E8C: 20080084
	v_mul_lo_u32 v20, 34, v4                                   // 000000002E90: D2850014 000208A2
	v_and_b32_e32 v4, 15, v0                                   // 000000002E98: 2608008F
	v_mul_lo_u32 v5, 2, v4                                     // 000000002E9C: D2850005 00020882
	v_add_u32_e32 v20, v5, v20                                 // 000000002EA4: 68282905
	s_mul_i32 s60, s7, 0x88                                    // 000000002EA8: 923CFF07 00000088
	v_add_u32_e32 v20, s60, v20                                // 000000002EB0: 6828283C
	v_lshlrev_b32_e32 v20, 2, v20                              // 000000002EB4: 24282882
	v_and_b32_e32 v4, 31, v0                                   // 000000002EB8: 2608009F
	v_lshrrev_b32_e32 v4, 1, v4                                // 000000002EBC: 20080881
	v_mul_lo_u32 v21, 34, v4                                   // 000000002EC0: D2850015 000208A2
	v_lshrrev_b32_e32 v4, 5, v0                                // 000000002EC8: 20080085
	v_mul_lo_u32 v4, 8, v4                                     // 000000002ECC: D2850004 00020888
	v_add_u32_e32 v21, v21, v4                                 // 000000002ED4: 682A0915
	v_and_b32_e32 v5, 1, v0                                    // 000000002ED8: 260A0081
	v_add_u32_e32 v21, v5, v21                                 // 000000002EDC: 682A2B05
	s_mul_i32 s60, s7, 2                                       // 000000002EE0: 923C8207
	v_add_u32_e32 v21, s60, v21                                // 000000002EE4: 682A2A3C
	v_lshlrev_b32_e32 v21, 2, v21                              // 000000002EE8: 242A2A82
	s_mul_i32 s60, s7, 0x420                                   // 000000002EEC: 923CFF07 00000420
	s_add_u32 s48, 0, s60                                      // 000000002EF4: 80303C80
	s_add_u32 s49, 0x1080, s48                                 // 000000002EF8: 803130FF 00001080
	v_lshrrev_b32_e32 v4, 4, v0                                // 000000002F00: 20080084
	v_lshlrev_b32_e32 v5, 2, v4                                // 000000002F04: 240A0882
	v_and_b32_e32 v4, 15, v0                                   // 000000002F08: 2608008F
	v_lshrrev_b32_e32 v6, 2, v4                                // 000000002F0C: 200C0882
	v_lshlrev_b32_e32 v6, 5, v6                                // 000000002F10: 240C0C85
	v_add_u32_e32 v5, v6, v5                                   // 000000002F14: 680A0B06
	v_and_b32_e32 v4, 3, v0                                    // 000000002F18: 26080083
	v_mul_u32_u24_e32 v6, 0x108, v4                            // 000000002F1C: 100C08FF 00000108
	v_add_u32_e32 v5, v6, v5                                   // 000000002F24: 680A0B06
	v_lshlrev_b32_e32 v2, 2, v5                                // 000000002F28: 24040A82
	s_waitcnt lgkmcnt(0)                                       // 000000002F2C: BF8CC07F
	s_mul_i32 s60, s2, 0x200                                   // 000000002F30: 923CFF02 00000200
	s_mul_i32 s60, s60, s69                                    // 000000002F38: 923C453C
	s_mul_i32 s61, s5, s72                                     // 000000002F3C: 923D4805
	s_add_u32 s60, s61, s60                                    // 000000002F40: 803C3C3D
	s_add_u32 s24, s60, s24                                    // 000000002F44: 8018183C
	s_addc_u32 s25, 0, s25                                     // 000000002F48: 82191980
	s_lshr_b32 s60, s64, s88                                   // 000000002F4C: 8F3C5840
	s_mul_i32 s60, s4, s60                                     // 000000002F50: 923C3C04
	s_lshr_b32 s60, s60, 7                                     // 000000002F54: 8F3C873C
	s_mul_i32 s60, s60, 0x800                                  // 000000002F58: 923CFF3C 00000800
	s_add_u32 s24, s60, s24                                    // 000000002F60: 8018183C
	s_addc_u32 s25, 0, s25                                     // 000000002F64: 82191980
	s_lshr_b32 s60, s69, s88                                   // 000000002F68: 8F3C5845
	s_mul_i32 s60, s4, s60                                     // 000000002F6C: 923C3C04
	s_add_u32 s20, s60, s20                                    // 000000002F70: 8014143C
	s_addc_u32 s21, 0, s21                                     // 000000002F74: 82151580
	s_mul_i32 s60, s7, 16                                      // 000000002F78: 923C9007
	s_mul_i32 s60, s60, s69                                    // 000000002F7C: 923C453C
	v_lshlrev_b32_e32 v40, 4, v0                               // 000000002F80: 24500084
	v_add_u32_e32 v40, s60, v40                                // 000000002F84: 6850503C
	s_mul_i32 s60, 64, s69                                     // 000000002F88: 923C45C0
	v_add_u32_e32 v41, s60, v40                                // 000000002F8C: 6852503C
	v_add_u32_e32 v42, s60, v41                                // 000000002F90: 6854523C
	v_add_u32_e32 v43, s60, v42                                // 000000002F94: 6856543C
	v_add_u32_e32 v44, s60, v43                                // 000000002F98: 6858563C
	v_add_u32_e32 v45, s60, v44                                // 000000002F9C: 685A583C
	v_add_u32_e32 v46, s60, v45                                // 000000002FA0: 685C5A3C
	v_add_u32_e32 v47, s60, v46                                // 000000002FA4: 685E5C3C
	s_mov_b32 s84, s24                                         // 000000002FA8: BED40018
	s_mov_b32 s85, s25                                         // 000000002FAC: BED50019
	s_mov_b32 s86, s26                                         // 000000002FB0: BED6001A
	s_mov_b32 s87, s27                                         // 000000002FB4: BED7001B
	s_mul_i32 s60, s69, s65                                    // 000000002FB8: 923C4145
	s_add_u32 s84, s60, s84                                    // 000000002FBC: 8054543C
	s_addc_u32 s85, 0, s85                                     // 000000002FC0: 82555580
	s_lshr_b32 s60, s64, 7                                     // 000000002FC4: 8F3C8740
	s_mul_i32 s61, s60, 4                                      // 000000002FC8: 923D843C
	v_and_b32_e32 v22, 15, v0                                  // 000000002FCC: 262C008F
	v_mul_lo_u32 v22, v22, s61                                 // 000000002FD0: D2850016 00007B16
	s_lshr_b32 s60, s65, 7                                     // 000000002FD8: 8F3C8741
	s_mul_i32 s60, s60, s61                                    // 000000002FDC: 923C3D3C
	v_add_u32_e64 v23, v22, s60                                // 000000002FE0: D1340017 00007916
	s_mul_i32 s60, s2, 4                                       // 000000002FE8: 923C8402
	s_mul_i32 s60, s60, s61                                    // 000000002FEC: 923C3D3C
	s_mul_i32 s61, s5, s74                                     // 000000002FF0: 923D4A05
	s_add_u32 s61, s61, s60                                    // 000000002FF4: 803D3C3D
	s_add_u32 s32, s61, s32                                    // 000000002FF8: 8020203D
	s_addc_u32 s33, 0, s33                                     // 000000002FFC: 82212180
	s_lshr_b32 s60, s64, 7                                     // 000000003000: 8F3C8740
	s_lshr_b32 s60, s60, s88                                   // 000000003004: 8F3C583C
	s_mul_i32 s60, s4, s60                                     // 000000003008: 923C3C04
	s_mul_i32 s61, s60, 4                                      // 00000000300C: 923D843C
	s_add_u32 s32, s61, s32                                    // 000000003010: 8020203D
	s_addc_u32 s33, 0, s33                                     // 000000003014: 82212180
	s_lshl_b32 s62, s66, 2                                     // 000000003018: 8E3E8242
	s_mul_i32 s62, s60, s62                                    // 00000000301C: 923E3E3C
	s_add_u32 s28, s62, s28                                    // 000000003020: 801C1C3E
	s_addc_u32 s29, 0, s29                                     // 000000003024: 821D1D80
	s_mov_b32 s4, 4                                            // 000000003028: BE840084
	s_mov_b32 s57, 0x80                                        // 00000000302C: BEB900FF 00000080
	s_mov_b32 s58, 0x800                                       // 000000003034: BEBA00FF 00000800
	s_mov_b32 s83, s58                                         // 00000000303C: BED3003A
	s_mov_b32 s52, 0x7060302                                   // 000000003040: BEB400FF 07060302
	s_mov_b32 s53, 0x400                                       // 000000003048: BEB500FF 00000400
	s_mov_b32 s54, 0x40100                                     // 000000003050: BEB600FF 00040100
	s_mov_b32 s55, 0x4020100                                   // 000000003058: BEB700FF 04020100
	s_mov_b32 s6, 0x3fb8aa3b                                   // 000000003060: BE8600FF 3FB8AA3B
	s_mov_b32 s78, 0xbd92220c                                  // 000000003068: BECE00FF BD92220C
	s_mov_b32 s79, 0xbd92220c                                  // 000000003070: BECF00FF BD92220C
	s_mov_b32 m0, s48                                          // 000000003078: BEFC0030
	v_mov_b32_e32 v1, 0xbfcc4231                               // 00000000307C: 7E0202FF BFCC4231
	v_mov_b32_e32 v17, 0xffff0000                              // 000000003084: 7E2202FF FFFF0000
	v_mov_b32_e32 v18, 0x7fff0000                              // 00000000308C: 7E2402FF 7FFF0000
	v_mov_b32_e32 v19, 0x7fff                                  // 000000003094: 7E2602FF 00007FFF
	s_waitcnt vmcnt(0) expcnt(0) lgkmcnt(0)                    // 00000000309C: BF8C0000
	v_lshrrev_b32_e32 v4, 5, v0                                // 0000000030A0: 20080085
	v_xor_b32_e32 v5, 1, v4                                    // 0000000030A4: 2A0A0881
	v_readlane_b32 s82, v3, 0                                  // 0000000030A8: D2890052 00010103
	s_and_b32 s82, s82, 0xffffff                               // 0000000030B0: 8652FF52 00FFFFFF
	v_mul_lo_u32 v6, v5, s82                                   // 0000000030B8: D2850006 0000A505
	v_readlane_b32 s82, v3, 1                                  // 0000000030C0: D2890052 00010303
	s_and_b32 s82, s82, 0xffffff                               // 0000000030C8: 8652FF52 00FFFFFF
	v_mul_lo_u32 v7, v4, s82                                   // 0000000030D0: D2850007 0000A504
	v_add_u32_e32 v36, v6, v7                                  // 0000000030D8: 68480F06
	v_mul_lo_u32 v36, v36, s68                                 // 0000000030DC: D2850024 00008924
	v_readlane_b32 s82, v3, 2                                  // 0000000030E4: D2890052 00010503
	s_and_b32 s82, s82, 0xffffff                               // 0000000030EC: 8652FF52 00FFFFFF
	v_mul_lo_u32 v6, v5, s82                                   // 0000000030F4: D2850006 0000A505
	v_readlane_b32 s82, v3, 3                                  // 0000000030FC: D2890052 00010703
	s_and_b32 s82, s82, 0xffffff                               // 000000003104: 8652FF52 00FFFFFF
	v_mul_lo_u32 v7, v4, s82                                   // 00000000310C: D2850007 0000A504
	v_add_u32_e32 v37, v6, v7                                  // 000000003114: 684A0F06
	v_mul_lo_u32 v37, v37, s68                                 // 000000003118: D2850025 00008925
	v_readlane_b32 s82, v3, 4                                  // 000000003120: D2890052 00010903
	s_and_b32 s82, s82, 0xffffff                               // 000000003128: 8652FF52 00FFFFFF
	v_mul_lo_u32 v6, v5, s82                                   // 000000003130: D2850006 0000A505
	v_readlane_b32 s82, v3, 5                                  // 000000003138: D2890052 00010B03
	s_and_b32 s82, s82, 0xffffff                               // 000000003140: 8652FF52 00FFFFFF
	v_mul_lo_u32 v7, v4, s82                                   // 000000003148: D2850007 0000A504
	v_add_u32_e32 v38, v6, v7                                  // 000000003150: 684C0F06
	v_mul_lo_u32 v38, v38, s68                                 // 000000003154: D2850026 00008926
	v_readlane_b32 s82, v3, 6                                  // 00000000315C: D2890052 00010D03
	s_and_b32 s82, s82, 0xffffff                               // 000000003164: 8652FF52 00FFFFFF
	v_mul_lo_u32 v6, v5, s82                                   // 00000000316C: D2850006 0000A505
	v_readlane_b32 s82, v3, 7                                  // 000000003174: D2890052 00010F03
	s_and_b32 s82, s82, 0xffffff                               // 00000000317C: 8652FF52 00FFFFFF
	v_mul_lo_u32 v7, v4, s82                                   // 000000003184: D2850007 0000A504
	v_add_u32_e32 v39, v6, v7                                  // 00000000318C: 684E0F06
	v_mul_lo_u32 v39, v39, s68                                 // 000000003190: D2850027 00008927
	v_and_b32_e32 v4, 31, v0                                   // 000000003198: 2608009F
	v_lshlrev_b32_e32 v4, 2, v4                                // 00000000319C: 24080882
	v_add_u32_e32 v36, v36, v4                                 // 0000000031A0: 68480924
	v_add_u32_e32 v37, v37, v4                                 // 0000000031A4: 684A0925
	v_add_u32_e32 v38, v38, v4                                 // 0000000031A8: 684C0926
	v_add_u32_e32 v39, v39, v4                                 // 0000000031AC: 684E0927
	v_and_b32_e32 v28, 0xffffff, v28                           // 0000000031B0: 263838FF 00FFFFFF
	v_lshlrev_b32_e32 v28, 2, v28                              // 0000000031B8: 24383882
	v_and_b32_e32 v29, 0xffffff, v29                           // 0000000031BC: 263A3AFF 00FFFFFF
	v_lshlrev_b32_e32 v29, 2, v29                              // 0000000031C4: 243A3A82
	s_lshl_b32 s3, s66, 2                                      // 0000000031C8: 8E038242
	buffer_load_dword v36, s[20:23], 0 offen lds               // 0000000031CC: E0511000 80050024
	s_add_u32 m0, 0x100, s48                                   // 0000000031D4: 807C30FF 00000100
	buffer_load_dword v37, s[20:23], 0 offen lds               // 0000000031DC: E0511000 80050025
	s_add_u32 m0, 0x200, s48                                   // 0000000031E4: 807C30FF 00000200
	buffer_load_dword v38, s[20:23], 0 offen lds               // 0000000031EC: E0511000 80050026
	s_add_u32 m0, 0x300, s48                                   // 0000000031F4: 807C30FF 00000300
	buffer_load_dword v39, s[20:23], 0 offen lds               // 0000000031FC: E0511000 80050027
	s_add_u32 m0, 0, s49                                       // 000000003204: 807C3180
	s_add_u32 s20, s57, s20                                    // 000000003208: 80141439
	s_addc_u32 s21, 0, s21                                     // 00000000320C: 82151580
	buffer_load_dword v30, v28, s[28:31], 0 offen              // 000000003210: E0501000 80071E1C
	buffer_load_dword v31, v29, s[28:31], 0 offen              // 000000003218: E0501000 80071F1D
	s_add_u32 s28, s3, s28                                     // 000000003220: 801C1C03
	s_addc_u32 s29, 0, s29                                     // 000000003224: 821D1D80
	buffer_load_dword v36, s[20:23], 0 offen lds               // 000000003228: E0511000 80050024
	s_add_u32 m0, 0x100, s49                                   // 000000003230: 807C31FF 00000100
	buffer_load_dword v37, s[20:23], 0 offen lds               // 000000003238: E0511000 80050025
	s_add_u32 m0, 0x200, s49                                   // 000000003240: 807C31FF 00000200
	;; [unrolled: 2-line block ×3, first 2 shown]
	buffer_load_dword v39, s[20:23], 0 offen lds               // 000000003258: E0511000 80050027
	s_add_u32 m0, 0, s48                                       // 000000003260: 807C3080
	s_add_u32 s20, s57, s20                                    // 000000003264: 80141439
	s_addc_u32 s21, 0, s21                                     // 000000003268: 82151580
	buffer_load_dword v32, v28, s[28:31], 0 offen              // 00000000326C: E0501000 8007201C
	buffer_load_dword v33, v29, s[28:31], 0 offen              // 000000003274: E0501000 8007211D
	s_add_u32 s28, s3, s28                                     // 00000000327C: 801C1C03
	s_addc_u32 s29, 0, s29                                     // 000000003280: 821D1D80
	buffer_load_dword v24, v22, s[32:35], 0 offen              // 000000003284: E0501000 80081816
	buffer_load_dwordx4 a[32:35], v40, s[24:27], 0 offen       // 00000000328C: E05C1000 80862028
	buffer_load_dwordx4 a[36:39], v40, s[24:27], 0 offen offset:1024// 000000003294: E05C1400 80862428
	buffer_load_dwordx4 a[40:43], v41, s[24:27], 0 offen       // 00000000329C: E05C1000 80862829
	buffer_load_dwordx4 a[44:47], v41, s[24:27], 0 offen offset:1024// 0000000032A4: E05C1400 80862C29
	buffer_load_dwordx4 a[48:51], v42, s[24:27], 0 offen       // 0000000032AC: E05C1000 8086302A
	buffer_load_dwordx4 a[52:55], v42, s[24:27], 0 offen offset:1024// 0000000032B4: E05C1400 8086342A
	buffer_load_dwordx4 a[56:59], v43, s[24:27], 0 offen       // 0000000032BC: E05C1000 8086382B
	buffer_load_dwordx4 a[60:63], v43, s[24:27], 0 offen offset:1024// 0000000032C4: E05C1400 80863C2B
	buffer_load_dwordx4 a[64:67], v44, s[24:27], 0 offen       // 0000000032CC: E05C1000 8086402C
	buffer_load_dwordx4 a[68:71], v44, s[24:27], 0 offen offset:1024// 0000000032D4: E05C1400 8086442C
	buffer_load_dwordx4 a[72:75], v45, s[24:27], 0 offen       // 0000000032DC: E05C1000 8086482D
	buffer_load_dwordx4 a[76:79], v45, s[24:27], 0 offen offset:1024// 0000000032E4: E05C1400 80864C2D
	buffer_load_dwordx4 a[80:83], v46, s[24:27], 0 offen       // 0000000032EC: E05C1000 8086502E
	buffer_load_dwordx4 a[84:87], v46, s[24:27], 0 offen offset:1024// 0000000032F4: E05C1400 8086542E
	buffer_load_dwordx4 a[88:91], v47, s[24:27], 0 offen       // 0000000032FC: E05C1000 8086582F
	buffer_load_dwordx4 a[92:95], v47, s[24:27], 0 offen offset:1024// 000000003304: E05C1400 80865C2F
	s_add_u32 s24, s58, s24                                    // 00000000330C: 8018183A
	s_addc_u32 s25, 0, s25                                     // 000000003310: 82191980
	s_waitcnt vmcnt(25)                                        // 000000003314: BF8C4F79
	s_barrier                                                  // 000000003318: BF8A0000
	ds_read_b128 a[0:3], v2                                    // 00000000331C: DBFE0000 00000002
	ds_read_b128 a[4:7], v2 offset:64                          // 000000003324: DBFE0040 04000002
	ds_read_b128 a[8:11], v2 offset:512                        // 00000000332C: DBFE0200 08000002
	ds_read_b128 a[12:15], v2 offset:576                       // 000000003334: DBFE0240 0C000002
	s_cmp_lt_i32 s7, 2                                         // 00000000333C: BF048207
	s_cbranch_scc0 label_1468                                  // 000000003340: BF841214

0000000000003344 <label_0251>:
	s_waitcnt vmcnt(14) lgkmcnt(0)                             // 000000003344: BF8C007E
	s_barrier                                                  // 000000003348: BF8A0000
	v_mov_b32_e32 v34, v30                                     // 00000000334C: 7E44031E
	v_mov_b32_e32 v35, v31                                     // 000000003350: 7E46031F
	v_mul_f32_dpp v4, v24, v34 row_newbcast:0 row_mask:0xf bank_mask:0xf// 000000003354: 0A0844FA FF015018
	v_mfma_f32_16x16x32_fp8_fp8 v[8:11], a[32:33], a[0:1], 0   // 00000000335C: D3F30008 1A020120
	buffer_load_dword v27, v23, s[32:35], 0 offen              // 000000003364: E0501000 80081B17
	v_mfma_f32_16x16x32_fp8_fp8 v[8:11], a[34:35], a[2:3], v[8:11]// 00000000336C: D3F30008 1C220522
	buffer_load_dwordx4 a[96:99], v40, s[84:87], 0 offen       // 000000003374: E05C1000 80956028
	v_mfma_f32_16x16x32_fp8_fp8 v[8:11], a[36:37], a[4:5], v[8:11]// 00000000337C: D3F30008 1C220924
	v_mfma_f32_16x16x32_fp8_fp8 v[8:11], a[38:39], a[6:7], v[8:11]// 000000003384: D3F30008 1C220D26
	v_mul_f32_dpp v6, v24, v35 row_newbcast:0 row_mask:0xf bank_mask:0xf// 00000000338C: 0A0C46FA FF015018
	v_mfma_f32_16x16x32_fp8_fp8 v[12:15], a[32:33], a[8:9], 0  // 000000003394: D3F3000C 1A021120
	v_mfma_f32_16x16x32_fp8_fp8 v[12:15], a[34:35], a[10:11], v[12:15]// 00000000339C: D3F3000C 1C321522
	buffer_load_dwordx4 a[100:103], v40, s[84:87], 0 offen offset:1024// 0000000033A4: E05C1400 80956428
	v_mfma_f32_16x16x32_fp8_fp8 v[12:15], a[36:37], a[12:13], v[12:15]// 0000000033AC: D3F3000C 1C321924
	v_mfma_f32_16x16x32_fp8_fp8 v[12:15], a[38:39], a[14:15], v[12:15]// 0000000033B4: D3F3000C 1C321D26
	v_fma_f32 v48, v8, v4, v48                                 // 0000000033BC: D1CB0030 04C20908
	v_fma_f32 v49, v9, v4, v49                                 // 0000000033C4: D1CB0031 04C60909
	v_fma_f32 v50, v10, v4, v50                                // 0000000033CC: D1CB0032 04CA090A
	v_fma_f32 v51, v11, v4, v51                                // 0000000033D4: D1CB0033 04CE090B
	s_waitcnt vmcnt(15)                                        // 0000000033DC: BF8C0F7F
	v_mul_f32_dpp v4, v24, v34 row_newbcast:0 row_mask:0xf bank_mask:0xf// 0000000033E0: 0A0844FA FF015018
	v_mfma_f32_16x16x32_fp8_fp8 v[8:11], a[40:41], a[0:1], 0   // 0000000033E8: D3F30008 1A020128
	v_mfma_f32_16x16x32_fp8_fp8 v[8:11], a[42:43], a[2:3], v[8:11]// 0000000033F0: D3F30008 1C22052A
	buffer_load_dwordx4 a[104:107], v41, s[84:87], 0 offen     // 0000000033F8: E05C1000 80956829
	v_mfma_f32_16x16x32_fp8_fp8 v[8:11], a[44:45], a[4:5], v[8:11]// 000000003400: D3F30008 1C22092C
	v_mfma_f32_16x16x32_fp8_fp8 v[8:11], a[46:47], a[6:7], v[8:11]// 000000003408: D3F30008 1C220D2E
	v_fma_f32 v52, v12, v6, v52                                // 000000003410: D1CB0034 04D20D0C
	v_fma_f32 v53, v13, v6, v53                                // 000000003418: D1CB0035 04D60D0D
	v_fma_f32 v54, v14, v6, v54                                // 000000003420: D1CB0036 04DA0D0E
	v_fma_f32 v55, v15, v6, v55                                // 000000003428: D1CB0037 04DE0D0F
	v_mul_f32_dpp v6, v24, v35 row_newbcast:0 row_mask:0xf bank_mask:0xf// 000000003430: 0A0C46FA FF015018
	v_mfma_f32_16x16x32_fp8_fp8 v[12:15], a[40:41], a[8:9], 0  // 000000003438: D3F3000C 1A021128
	v_mfma_f32_16x16x32_fp8_fp8 v[12:15], a[42:43], a[10:11], v[12:15]// 000000003440: D3F3000C 1C32152A
	buffer_load_dwordx4 a[108:111], v41, s[84:87], 0 offen offset:1024// 000000003448: E05C1400 80956C29
	v_mfma_f32_16x16x32_fp8_fp8 v[12:15], a[44:45], a[12:13], v[12:15]// 000000003450: D3F3000C 1C32192C
	v_mfma_f32_16x16x32_fp8_fp8 v[12:15], a[46:47], a[14:15], v[12:15]// 000000003458: D3F3000C 1C321D2E
	v_fma_f32 v56, v8, v4, v56                                 // 000000003460: D1CB0038 04E20908
	v_fma_f32 v57, v9, v4, v57                                 // 000000003468: D1CB0039 04E60909
	v_fma_f32 v58, v10, v4, v58                                // 000000003470: D1CB003A 04EA090A
	v_fma_f32 v59, v11, v4, v59                                // 000000003478: D1CB003B 04EE090B
	s_waitcnt vmcnt(15)                                        // 000000003480: BF8C0F7F
	v_mul_f32_dpp v4, v24, v34 row_newbcast:1 row_mask:0xf bank_mask:0xf// 000000003484: 0A0844FA FF015118
	v_mfma_f32_16x16x32_fp8_fp8 v[8:11], a[48:49], a[0:1], 0   // 00000000348C: D3F30008 1A020130
	v_mfma_f32_16x16x32_fp8_fp8 v[8:11], a[50:51], a[2:3], v[8:11]// 000000003494: D3F30008 1C220532
	buffer_load_dwordx4 a[112:115], v42, s[84:87], 0 offen     // 00000000349C: E05C1000 8095702A
	v_mfma_f32_16x16x32_fp8_fp8 v[8:11], a[52:53], a[4:5], v[8:11]// 0000000034A4: D3F30008 1C220934
	v_mfma_f32_16x16x32_fp8_fp8 v[8:11], a[54:55], a[6:7], v[8:11]// 0000000034AC: D3F30008 1C220D36
	v_fma_f32 v60, v12, v6, v60                                // 0000000034B4: D1CB003C 04F20D0C
	v_fma_f32 v61, v13, v6, v61                                // 0000000034BC: D1CB003D 04F60D0D
	v_fma_f32 v62, v14, v6, v62                                // 0000000034C4: D1CB003E 04FA0D0E
	v_fma_f32 v63, v15, v6, v63                                // 0000000034CC: D1CB003F 04FE0D0F
	v_mul_f32_dpp v6, v24, v35 row_newbcast:1 row_mask:0xf bank_mask:0xf// 0000000034D4: 0A0C46FA FF015118
	v_mfma_f32_16x16x32_fp8_fp8 v[12:15], a[48:49], a[8:9], 0  // 0000000034DC: D3F3000C 1A021130
	v_mfma_f32_16x16x32_fp8_fp8 v[12:15], a[50:51], a[10:11], v[12:15]// 0000000034E4: D3F3000C 1C321532
	buffer_load_dwordx4 a[116:119], v42, s[84:87], 0 offen offset:1024// 0000000034EC: E05C1400 8095742A
	v_mfma_f32_16x16x32_fp8_fp8 v[12:15], a[52:53], a[12:13], v[12:15]// 0000000034F4: D3F3000C 1C321934
	v_mfma_f32_16x16x32_fp8_fp8 v[12:15], a[54:55], a[14:15], v[12:15]// 0000000034FC: D3F3000C 1C321D36
	v_fma_f32 v64, v8, v4, v64                                 // 000000003504: D1CB0040 05020908
	v_fma_f32 v65, v9, v4, v65                                 // 00000000350C: D1CB0041 05060909
	v_fma_f32 v66, v10, v4, v66                                // 000000003514: D1CB0042 050A090A
	v_fma_f32 v67, v11, v4, v67                                // 00000000351C: D1CB0043 050E090B
	s_waitcnt vmcnt(15)                                        // 000000003524: BF8C0F7F
	v_mul_f32_dpp v4, v24, v34 row_newbcast:1 row_mask:0xf bank_mask:0xf// 000000003528: 0A0844FA FF015118
	v_mfma_f32_16x16x32_fp8_fp8 v[8:11], a[56:57], a[0:1], 0   // 000000003530: D3F30008 1A020138
	v_mfma_f32_16x16x32_fp8_fp8 v[8:11], a[58:59], a[2:3], v[8:11]// 000000003538: D3F30008 1C22053A
	buffer_load_dwordx4 a[120:123], v43, s[84:87], 0 offen     // 000000003540: E05C1000 8095782B
	v_mfma_f32_16x16x32_fp8_fp8 v[8:11], a[60:61], a[4:5], v[8:11]// 000000003548: D3F30008 1C22093C
	v_mfma_f32_16x16x32_fp8_fp8 v[8:11], a[62:63], a[6:7], v[8:11]// 000000003550: D3F30008 1C220D3E
	v_fma_f32 v68, v12, v6, v68                                // 000000003558: D1CB0044 05120D0C
	v_fma_f32 v69, v13, v6, v69                                // 000000003560: D1CB0045 05160D0D
	v_fma_f32 v70, v14, v6, v70                                // 000000003568: D1CB0046 051A0D0E
	v_fma_f32 v71, v15, v6, v71                                // 000000003570: D1CB0047 051E0D0F
	v_mul_f32_dpp v6, v24, v35 row_newbcast:1 row_mask:0xf bank_mask:0xf// 000000003578: 0A0C46FA FF015118
	v_mfma_f32_16x16x32_fp8_fp8 v[12:15], a[56:57], a[8:9], 0  // 000000003580: D3F3000C 1A021138
	v_mfma_f32_16x16x32_fp8_fp8 v[12:15], a[58:59], a[10:11], v[12:15]// 000000003588: D3F3000C 1C32153A
	buffer_load_dwordx4 a[124:127], v43, s[84:87], 0 offen offset:1024// 000000003590: E05C1400 80957C2B
	v_mfma_f32_16x16x32_fp8_fp8 v[12:15], a[60:61], a[12:13], v[12:15]// 000000003598: D3F3000C 1C32193C
	v_mfma_f32_16x16x32_fp8_fp8 v[12:15], a[62:63], a[14:15], v[12:15]// 0000000035A0: D3F3000C 1C321D3E
	v_fma_f32 v72, v8, v4, v72                                 // 0000000035A8: D1CB0048 05220908
	v_fma_f32 v73, v9, v4, v73                                 // 0000000035B0: D1CB0049 05260909
	v_fma_f32 v74, v10, v4, v74                                // 0000000035B8: D1CB004A 052A090A
	v_fma_f32 v75, v11, v4, v75                                // 0000000035C0: D1CB004B 052E090B
	s_waitcnt vmcnt(15)                                        // 0000000035C8: BF8C0F7F
	v_mul_f32_dpp v4, v24, v34 row_newbcast:2 row_mask:0xf bank_mask:0xf// 0000000035CC: 0A0844FA FF015218
	v_mfma_f32_16x16x32_fp8_fp8 v[8:11], a[64:65], a[0:1], 0   // 0000000035D4: D3F30008 1A020140
	v_mfma_f32_16x16x32_fp8_fp8 v[8:11], a[66:67], a[2:3], v[8:11]// 0000000035DC: D3F30008 1C220542
	buffer_load_dwordx4 a[128:131], v44, s[84:87], 0 offen     // 0000000035E4: E05C1000 8095802C
	v_mfma_f32_16x16x32_fp8_fp8 v[8:11], a[68:69], a[4:5], v[8:11]// 0000000035EC: D3F30008 1C220944
	v_mfma_f32_16x16x32_fp8_fp8 v[8:11], a[70:71], a[6:7], v[8:11]// 0000000035F4: D3F30008 1C220D46
	v_fma_f32 v76, v12, v6, v76                                // 0000000035FC: D1CB004C 05320D0C
	v_fma_f32 v77, v13, v6, v77                                // 000000003604: D1CB004D 05360D0D
	v_fma_f32 v78, v14, v6, v78                                // 00000000360C: D1CB004E 053A0D0E
	v_fma_f32 v79, v15, v6, v79                                // 000000003614: D1CB004F 053E0D0F
	v_mul_f32_dpp v6, v24, v35 row_newbcast:2 row_mask:0xf bank_mask:0xf// 00000000361C: 0A0C46FA FF015218
	v_mfma_f32_16x16x32_fp8_fp8 v[12:15], a[64:65], a[8:9], 0  // 000000003624: D3F3000C 1A021140
	v_mfma_f32_16x16x32_fp8_fp8 v[12:15], a[66:67], a[10:11], v[12:15]// 00000000362C: D3F3000C 1C321542
	buffer_load_dwordx4 a[132:135], v44, s[84:87], 0 offen offset:1024// 000000003634: E05C1400 8095842C
	v_mfma_f32_16x16x32_fp8_fp8 v[12:15], a[68:69], a[12:13], v[12:15]// 00000000363C: D3F3000C 1C321944
	v_mfma_f32_16x16x32_fp8_fp8 v[12:15], a[70:71], a[14:15], v[12:15]// 000000003644: D3F3000C 1C321D46
	v_fma_f32 v80, v8, v4, v80                                 // 00000000364C: D1CB0050 05420908
	v_fma_f32 v81, v9, v4, v81                                 // 000000003654: D1CB0051 05460909
	v_fma_f32 v82, v10, v4, v82                                // 00000000365C: D1CB0052 054A090A
	v_fma_f32 v83, v11, v4, v83                                // 000000003664: D1CB0053 054E090B
	s_waitcnt vmcnt(15)                                        // 00000000366C: BF8C0F7F
	v_mul_f32_dpp v4, v24, v34 row_newbcast:2 row_mask:0xf bank_mask:0xf// 000000003670: 0A0844FA FF015218
	v_mfma_f32_16x16x32_fp8_fp8 v[8:11], a[72:73], a[0:1], 0   // 000000003678: D3F30008 1A020148
	v_mfma_f32_16x16x32_fp8_fp8 v[8:11], a[74:75], a[2:3], v[8:11]// 000000003680: D3F30008 1C22054A
	buffer_load_dwordx4 a[136:139], v45, s[84:87], 0 offen     // 000000003688: E05C1000 8095882D
	v_mfma_f32_16x16x32_fp8_fp8 v[8:11], a[76:77], a[4:5], v[8:11]// 000000003690: D3F30008 1C22094C
	v_mfma_f32_16x16x32_fp8_fp8 v[8:11], a[78:79], a[6:7], v[8:11]// 000000003698: D3F30008 1C220D4E
	v_fma_f32 v84, v12, v6, v84                                // 0000000036A0: D1CB0054 05520D0C
	v_fma_f32 v85, v13, v6, v85                                // 0000000036A8: D1CB0055 05560D0D
	v_fma_f32 v86, v14, v6, v86                                // 0000000036B0: D1CB0056 055A0D0E
	v_fma_f32 v87, v15, v6, v87                                // 0000000036B8: D1CB0057 055E0D0F
	v_mul_f32_dpp v6, v24, v35 row_newbcast:2 row_mask:0xf bank_mask:0xf// 0000000036C0: 0A0C46FA FF015218
	v_mfma_f32_16x16x32_fp8_fp8 v[12:15], a[72:73], a[8:9], 0  // 0000000036C8: D3F3000C 1A021148
	v_mfma_f32_16x16x32_fp8_fp8 v[12:15], a[74:75], a[10:11], v[12:15]// 0000000036D0: D3F3000C 1C32154A
	buffer_load_dwordx4 a[140:143], v45, s[84:87], 0 offen offset:1024// 0000000036D8: E05C1400 80958C2D
	v_mfma_f32_16x16x32_fp8_fp8 v[12:15], a[76:77], a[12:13], v[12:15]// 0000000036E0: D3F3000C 1C32194C
	v_mfma_f32_16x16x32_fp8_fp8 v[12:15], a[78:79], a[14:15], v[12:15]// 0000000036E8: D3F3000C 1C321D4E
	v_fma_f32 v88, v8, v4, v88                                 // 0000000036F0: D1CB0058 05620908
	v_fma_f32 v89, v9, v4, v89                                 // 0000000036F8: D1CB0059 05660909
	v_fma_f32 v90, v10, v4, v90                                // 000000003700: D1CB005A 056A090A
	v_fma_f32 v91, v11, v4, v91                                // 000000003708: D1CB005B 056E090B
	s_waitcnt vmcnt(15)                                        // 000000003710: BF8C0F7F
	v_mul_f32_dpp v4, v24, v34 row_newbcast:3 row_mask:0xf bank_mask:0xf// 000000003714: 0A0844FA FF015318
	v_mfma_f32_16x16x32_fp8_fp8 v[8:11], a[80:81], a[0:1], 0   // 00000000371C: D3F30008 1A020150
	v_mfma_f32_16x16x32_fp8_fp8 v[8:11], a[82:83], a[2:3], v[8:11]// 000000003724: D3F30008 1C220552
	buffer_load_dwordx4 a[144:147], v46, s[84:87], 0 offen     // 00000000372C: E05C1000 8095902E
	v_mfma_f32_16x16x32_fp8_fp8 v[8:11], a[84:85], a[4:5], v[8:11]// 000000003734: D3F30008 1C220954
	v_mfma_f32_16x16x32_fp8_fp8 v[8:11], a[86:87], a[6:7], v[8:11]// 00000000373C: D3F30008 1C220D56
	v_fma_f32 v92, v12, v6, v92                                // 000000003744: D1CB005C 05720D0C
	v_fma_f32 v93, v13, v6, v93                                // 00000000374C: D1CB005D 05760D0D
	v_fma_f32 v94, v14, v6, v94                                // 000000003754: D1CB005E 057A0D0E
	v_fma_f32 v95, v15, v6, v95                                // 00000000375C: D1CB005F 057E0D0F
	v_mul_f32_dpp v6, v24, v35 row_newbcast:3 row_mask:0xf bank_mask:0xf// 000000003764: 0A0C46FA FF015318
	v_mfma_f32_16x16x32_fp8_fp8 v[12:15], a[80:81], a[8:9], 0  // 00000000376C: D3F3000C 1A021150
	v_mfma_f32_16x16x32_fp8_fp8 v[12:15], a[82:83], a[10:11], v[12:15]// 000000003774: D3F3000C 1C321552
	buffer_load_dwordx4 a[148:151], v46, s[84:87], 0 offen offset:1024// 00000000377C: E05C1400 8095942E
	v_mfma_f32_16x16x32_fp8_fp8 v[12:15], a[84:85], a[12:13], v[12:15]// 000000003784: D3F3000C 1C321954
	v_mfma_f32_16x16x32_fp8_fp8 v[12:15], a[86:87], a[14:15], v[12:15]// 00000000378C: D3F3000C 1C321D56
	v_fma_f32 v96, v8, v4, v96                                 // 000000003794: D1CB0060 05820908
	v_fma_f32 v97, v9, v4, v97                                 // 00000000379C: D1CB0061 05860909
	v_fma_f32 v98, v10, v4, v98                                // 0000000037A4: D1CB0062 058A090A
	v_fma_f32 v99, v11, v4, v99                                // 0000000037AC: D1CB0063 058E090B
	s_waitcnt vmcnt(15)                                        // 0000000037B4: BF8C0F7F
	v_mul_f32_dpp v4, v24, v34 row_newbcast:3 row_mask:0xf bank_mask:0xf// 0000000037B8: 0A0844FA FF015318
	v_mfma_f32_16x16x32_fp8_fp8 v[8:11], a[88:89], a[0:1], 0   // 0000000037C0: D3F30008 1A020158
	v_mfma_f32_16x16x32_fp8_fp8 v[8:11], a[90:91], a[2:3], v[8:11]// 0000000037C8: D3F30008 1C22055A
	buffer_load_dwordx4 a[152:155], v47, s[84:87], 0 offen     // 0000000037D0: E05C1000 8095982F
	v_mfma_f32_16x16x32_fp8_fp8 v[8:11], a[92:93], a[4:5], v[8:11]// 0000000037D8: D3F30008 1C22095C
	v_mfma_f32_16x16x32_fp8_fp8 v[8:11], a[94:95], a[6:7], v[8:11]// 0000000037E0: D3F30008 1C220D5E
	v_fma_f32 v100, v12, v6, v100                              // 0000000037E8: D1CB0064 05920D0C
	v_fma_f32 v101, v13, v6, v101                              // 0000000037F0: D1CB0065 05960D0D
	v_fma_f32 v102, v14, v6, v102                              // 0000000037F8: D1CB0066 059A0D0E
	v_fma_f32 v103, v15, v6, v103                              // 000000003800: D1CB0067 059E0D0F
	v_mul_f32_dpp v6, v24, v35 row_newbcast:3 row_mask:0xf bank_mask:0xf// 000000003808: 0A0C46FA FF015318
	v_mfma_f32_16x16x32_fp8_fp8 v[12:15], a[88:89], a[8:9], 0  // 000000003810: D3F3000C 1A021158
	v_mfma_f32_16x16x32_fp8_fp8 v[12:15], a[90:91], a[10:11], v[12:15]// 000000003818: D3F3000C 1C32155A
	buffer_load_dwordx4 a[156:159], v47, s[84:87], 0 offen offset:1024// 000000003820: E05C1400 80959C2F
	buffer_load_dword v36, s[20:23], 0 offen lds               // 000000003828: E0511000 80050024
	s_add_u32 m0, 0x100, s48                                   // 000000003830: 807C30FF 00000100
	s_add_u32 s60, 0x80, s80                                   // 000000003838: 803C50FF 00000080
	s_cmp_lt_u32 s60, s81                                      // 000000003840: BF0A513C
	s_cselect_b32 s83, s83, 0                                  // 000000003844: 85538053
	s_cselect_b32 s4, s4, 0                                    // 000000003848: 85048004
	v_mfma_f32_16x16x32_fp8_fp8 v[12:15], a[92:93], a[12:13], v[12:15]// 00000000384C: D3F3000C 1C32195C
	s_add_u32 s32, s4, s32                                     // 000000003854: 80202004
	s_addc_u32 s33, 0, s33                                     // 000000003858: 82212180
	v_mfma_f32_16x16x32_fp8_fp8 v[12:15], a[94:95], a[14:15], v[12:15]// 00000000385C: D3F3000C 1C321D5E
	buffer_load_dword v37, s[20:23], 0 offen lds               // 000000003864: E0511000 80050025
	s_add_u32 m0, 0x200, s48                                   // 00000000386C: 807C30FF 00000200
	v_fma_f32 v104, v8, v4, v104                               // 000000003874: D1CB0068 05A20908
	v_fma_f32 v105, v9, v4, v105                               // 00000000387C: D1CB0069 05A60909
	v_fma_f32 v106, v10, v4, v106                              // 000000003884: D1CB006A 05AA090A
	v_fma_f32 v107, v11, v4, v107                              // 00000000388C: D1CB006B 05AE090B
	v_fma_f32 v108, v12, v6, v108                              // 000000003894: D1CB006C 05B20D0C
	v_fma_f32 v109, v13, v6, v109                              // 00000000389C: D1CB006D 05B60D0D
	v_fma_f32 v110, v14, v6, v110                              // 0000000038A4: D1CB006E 05BA0D0E
	v_fma_f32 v111, v15, v6, v111                              // 0000000038AC: D1CB006F 05BE0D0F
	buffer_load_dword v38, s[20:23], 0 offen lds               // 0000000038B4: E0511000 80050026
	s_add_u32 m0, 0x300, s48                                   // 0000000038BC: 807C30FF 00000300
	buffer_load_dword v39, s[20:23], 0 offen lds               // 0000000038C4: E0511000 80050027
	s_add_u32 m0, 0, s49                                       // 0000000038CC: 807C3180
	buffer_load_dword v30, v28, s[28:31], 0 offen              // 0000000038D0: E0501000 80071E1C
	buffer_load_dword v31, v29, s[28:31], 0 offen              // 0000000038D8: E0501000 80071F1D
	s_waitcnt vmcnt(6)                                         // 0000000038E0: BF8C0F76
	v_mul_f32_dpp v4, v27, v34 row_newbcast:0 row_mask:0xf bank_mask:0xf// 0000000038E4: 0A0844FA FF01501B
	v_mfma_f32_16x16x32_fp8_fp8 v[8:11], a[96:97], a[0:1], 0   // 0000000038EC: D3F30008 1A020160
	buffer_load_dword v24, v22, s[32:35], 0 offen              // 0000000038F4: E0501000 80081816
	v_mfma_f32_16x16x32_fp8_fp8 v[8:11], a[98:99], a[2:3], v[8:11]// 0000000038FC: D3F30008 1C220562
	buffer_load_dwordx4 a[32:35], v40, s[24:27], 0 offen       // 000000003904: E05C1000 80862028
	v_mfma_f32_16x16x32_fp8_fp8 v[8:11], a[100:101], a[4:5], v[8:11]// 00000000390C: D3F30008 1C220964
	v_mfma_f32_16x16x32_fp8_fp8 v[8:11], a[102:103], a[6:7], v[8:11]// 000000003914: D3F30008 1C220D66
	ds_read_b128 a[16:19], v2 offset:4224                      // 00000000391C: DBFE1080 10000002
	ds_read_b128 a[20:23], v2 offset:4288                      // 000000003924: DBFE10C0 14000002
	v_mfma_f32_16x16x32_fp8_fp8 v[12:15], a[104:105], a[0:1], 0// 00000000392C: D3F3000C 1A020168
	v_mfma_f32_16x16x32_fp8_fp8 v[12:15], a[106:107], a[2:3], v[12:15]// 000000003934: D3F3000C 1C32056A
	buffer_load_dwordx4 a[36:39], v40, s[24:27], 0 offen offset:1024// 00000000393C: E05C1400 80862428
	v_mfma_f32_16x16x32_fp8_fp8 v[12:15], a[108:109], a[4:5], v[12:15]// 000000003944: D3F3000C 1C32096C
	v_mfma_f32_16x16x32_fp8_fp8 v[12:15], a[110:111], a[6:7], v[12:15]// 00000000394C: D3F3000C 1C320D6E
	ds_read_b128 a[24:27], v2 offset:4736                      // 000000003954: DBFE1280 18000002
	ds_read_b128 a[28:31], v2 offset:4800                      // 00000000395C: DBFE12C0 1C000002
	v_fma_f32 v112, v8, v4, v112                               // 000000003964: D1CB0070 05C20908
	v_fma_f32 v113, v9, v4, v113                               // 00000000396C: D1CB0071 05C60909
	v_fma_f32 v114, v10, v4, v114                              // 000000003974: D1CB0072 05CA090A
	v_fma_f32 v115, v11, v4, v115                              // 00000000397C: D1CB0073 05CE090B
	v_mul_f32_dpp v6, v27, v34 row_newbcast:1 row_mask:0xf bank_mask:0xf// 000000003984: 0A0C44FA FF01511B
	v_mfma_f32_16x16x32_fp8_fp8 v[8:11], a[112:113], a[0:1], 0 // 00000000398C: D3F30008 1A020170
	v_mfma_f32_16x16x32_fp8_fp8 v[8:11], a[114:115], a[2:3], v[8:11]// 000000003994: D3F30008 1C220572
	buffer_load_dwordx4 a[40:43], v41, s[24:27], 0 offen       // 00000000399C: E05C1000 80862829
	v_mfma_f32_16x16x32_fp8_fp8 v[8:11], a[116:117], a[4:5], v[8:11]// 0000000039A4: D3F30008 1C220974
	v_mfma_f32_16x16x32_fp8_fp8 v[8:11], a[118:119], a[6:7], v[8:11]// 0000000039AC: D3F30008 1C220D76
	v_fma_f32 v120, v12, v4, v120                              // 0000000039B4: D1CB0078 05E2090C
	v_fma_f32 v121, v13, v4, v121                              // 0000000039BC: D1CB0079 05E6090D
	v_fma_f32 v122, v14, v4, v122                              // 0000000039C4: D1CB007A 05EA090E
	v_fma_f32 v123, v15, v4, v123                              // 0000000039CC: D1CB007B 05EE090F
	v_mfma_f32_16x16x32_fp8_fp8 v[12:15], a[120:121], a[0:1], 0// 0000000039D4: D3F3000C 1A020178
	v_mfma_f32_16x16x32_fp8_fp8 v[12:15], a[122:123], a[2:3], v[12:15]// 0000000039DC: D3F3000C 1C32057A
	buffer_load_dwordx4 a[44:47], v41, s[24:27], 0 offen offset:1024// 0000000039E4: E05C1400 80862C29
	v_mfma_f32_16x16x32_fp8_fp8 v[12:15], a[124:125], a[4:5], v[12:15]// 0000000039EC: D3F3000C 1C32097C
	v_mfma_f32_16x16x32_fp8_fp8 v[12:15], a[126:127], a[6:7], v[12:15]// 0000000039F4: D3F3000C 1C320D7E
	v_fma_f32 v128, v8, v6, v128                               // 0000000039FC: D1CB0080 06020D08
	v_fma_f32 v129, v9, v6, v129                               // 000000003A04: D1CB0081 06060D09
	v_fma_f32 v130, v10, v6, v130                              // 000000003A0C: D1CB0082 060A0D0A
	v_fma_f32 v131, v11, v6, v131                              // 000000003A14: D1CB0083 060E0D0B
	v_mul_f32_dpp v4, v27, v34 row_newbcast:2 row_mask:0xf bank_mask:0xf// 000000003A1C: 0A0844FA FF01521B
	v_mfma_f32_16x16x32_fp8_fp8 v[8:11], a[128:129], a[0:1], 0 // 000000003A24: D3F30008 1A020180
	v_mfma_f32_16x16x32_fp8_fp8 v[8:11], a[130:131], a[2:3], v[8:11]// 000000003A2C: D3F30008 1C220582
	buffer_load_dwordx4 a[48:51], v42, s[24:27], 0 offen       // 000000003A34: E05C1000 8086302A
	v_mfma_f32_16x16x32_fp8_fp8 v[8:11], a[132:133], a[4:5], v[8:11]// 000000003A3C: D3F30008 1C220984
	v_mfma_f32_16x16x32_fp8_fp8 v[8:11], a[134:135], a[6:7], v[8:11]// 000000003A44: D3F30008 1C220D86
	v_fma_f32 v136, v12, v6, v136                              // 000000003A4C: D1CB0088 06220D0C
	v_fma_f32 v137, v13, v6, v137                              // 000000003A54: D1CB0089 06260D0D
	v_fma_f32 v138, v14, v6, v138                              // 000000003A5C: D1CB008A 062A0D0E
	v_fma_f32 v139, v15, v6, v139                              // 000000003A64: D1CB008B 062E0D0F
	v_mfma_f32_16x16x32_fp8_fp8 v[12:15], a[136:137], a[0:1], 0// 000000003A6C: D3F3000C 1A020188
	v_mfma_f32_16x16x32_fp8_fp8 v[12:15], a[138:139], a[2:3], v[12:15]// 000000003A74: D3F3000C 1C32058A
	buffer_load_dwordx4 a[52:55], v42, s[24:27], 0 offen offset:1024// 000000003A7C: E05C1400 8086342A
	v_mfma_f32_16x16x32_fp8_fp8 v[12:15], a[140:141], a[4:5], v[12:15]// 000000003A84: D3F3000C 1C32098C
	v_mfma_f32_16x16x32_fp8_fp8 v[12:15], a[142:143], a[6:7], v[12:15]// 000000003A8C: D3F3000C 1C320D8E
	v_fma_f32 v144, v8, v4, v144                               // 000000003A94: D1CB0090 06420908
	v_fma_f32 v145, v9, v4, v145                               // 000000003A9C: D1CB0091 06460909
	v_fma_f32 v146, v10, v4, v146                              // 000000003AA4: D1CB0092 064A090A
	v_fma_f32 v147, v11, v4, v147                              // 000000003AAC: D1CB0093 064E090B
	v_mul_f32_dpp v6, v27, v34 row_newbcast:3 row_mask:0xf bank_mask:0xf// 000000003AB4: 0A0C44FA FF01531B
	v_mfma_f32_16x16x32_fp8_fp8 v[8:11], a[144:145], a[0:1], 0 // 000000003ABC: D3F30008 1A020190
	v_mfma_f32_16x16x32_fp8_fp8 v[8:11], a[146:147], a[2:3], v[8:11]// 000000003AC4: D3F30008 1C220592
	buffer_load_dwordx4 a[56:59], v43, s[24:27], 0 offen       // 000000003ACC: E05C1000 8086382B
	v_mfma_f32_16x16x32_fp8_fp8 v[8:11], a[148:149], a[4:5], v[8:11]// 000000003AD4: D3F30008 1C220994
	v_mfma_f32_16x16x32_fp8_fp8 v[8:11], a[150:151], a[6:7], v[8:11]// 000000003ADC: D3F30008 1C220D96
	v_fma_f32 v152, v12, v4, v152                              // 000000003AE4: D1CB0098 0662090C
	v_fma_f32 v153, v13, v4, v153                              // 000000003AEC: D1CB0099 0666090D
	v_fma_f32 v154, v14, v4, v154                              // 000000003AF4: D1CB009A 066A090E
	v_fma_f32 v155, v15, v4, v155                              // 000000003AFC: D1CB009B 066E090F
	v_mfma_f32_16x16x32_fp8_fp8 v[12:15], a[152:153], a[0:1], 0// 000000003B04: D3F3000C 1A020198
	v_mfma_f32_16x16x32_fp8_fp8 v[12:15], a[154:155], a[2:3], v[12:15]// 000000003B0C: D3F3000C 1C32059A
	buffer_load_dwordx4 a[60:63], v43, s[24:27], 0 offen offset:1024// 000000003B14: E05C1400 80863C2B
	v_mfma_f32_16x16x32_fp8_fp8 v[12:15], a[156:157], a[4:5], v[12:15]// 000000003B1C: D3F3000C 1C32099C
	v_mfma_f32_16x16x32_fp8_fp8 v[12:15], a[158:159], a[6:7], v[12:15]// 000000003B24: D3F3000C 1C320D9E
	v_fma_f32 v160, v8, v6, v160                               // 000000003B2C: D1CB00A0 06820D08
	v_fma_f32 v161, v9, v6, v161                               // 000000003B34: D1CB00A1 06860D09
	v_fma_f32 v162, v10, v6, v162                              // 000000003B3C: D1CB00A2 068A0D0A
	v_fma_f32 v163, v11, v6, v163                              // 000000003B44: D1CB00A3 068E0D0B
	v_mul_f32_dpp v4, v27, v35 row_newbcast:0 row_mask:0xf bank_mask:0xf// 000000003B4C: 0A0846FA FF01501B
	v_mfma_f32_16x16x32_fp8_fp8 v[8:11], a[96:97], a[8:9], 0   // 000000003B54: D3F30008 1A021160
	v_mfma_f32_16x16x32_fp8_fp8 v[8:11], a[98:99], a[10:11], v[8:11]// 000000003B5C: D3F30008 1C221562
	buffer_load_dwordx4 a[64:67], v44, s[24:27], 0 offen       // 000000003B64: E05C1000 8086402C
	v_mfma_f32_16x16x32_fp8_fp8 v[8:11], a[100:101], a[12:13], v[8:11]// 000000003B6C: D3F30008 1C221964
	v_mfma_f32_16x16x32_fp8_fp8 v[8:11], a[102:103], a[14:15], v[8:11]// 000000003B74: D3F30008 1C221D66
	v_fma_f32 v168, v12, v6, v168                              // 000000003B7C: D1CB00A8 06A20D0C
	v_fma_f32 v169, v13, v6, v169                              // 000000003B84: D1CB00A9 06A60D0D
	v_fma_f32 v170, v14, v6, v170                              // 000000003B8C: D1CB00AA 06AA0D0E
	v_fma_f32 v171, v15, v6, v171                              // 000000003B94: D1CB00AB 06AE0D0F
	v_mfma_f32_16x16x32_fp8_fp8 v[12:15], a[104:105], a[8:9], 0// 000000003B9C: D3F3000C 1A021168
	v_mfma_f32_16x16x32_fp8_fp8 v[12:15], a[106:107], a[10:11], v[12:15]// 000000003BA4: D3F3000C 1C32156A
	buffer_load_dwordx4 a[68:71], v44, s[24:27], 0 offen offset:1024// 000000003BAC: E05C1400 8086442C
	v_mfma_f32_16x16x32_fp8_fp8 v[12:15], a[108:109], a[12:13], v[12:15]// 000000003BB4: D3F3000C 1C32196C
	v_mfma_f32_16x16x32_fp8_fp8 v[12:15], a[110:111], a[14:15], v[12:15]// 000000003BBC: D3F3000C 1C321D6E
	v_fma_f32 v116, v8, v4, v116                               // 000000003BC4: D1CB0074 05D20908
	v_fma_f32 v117, v9, v4, v117                               // 000000003BCC: D1CB0075 05D60909
	v_fma_f32 v118, v10, v4, v118                              // 000000003BD4: D1CB0076 05DA090A
	v_fma_f32 v119, v11, v4, v119                              // 000000003BDC: D1CB0077 05DE090B
	v_mul_f32_dpp v6, v27, v35 row_newbcast:1 row_mask:0xf bank_mask:0xf// 000000003BE4: 0A0C46FA FF01511B
	v_mfma_f32_16x16x32_fp8_fp8 v[8:11], a[112:113], a[8:9], 0 // 000000003BEC: D3F30008 1A021170
	v_mfma_f32_16x16x32_fp8_fp8 v[8:11], a[114:115], a[10:11], v[8:11]// 000000003BF4: D3F30008 1C221572
	buffer_load_dwordx4 a[72:75], v45, s[24:27], 0 offen       // 000000003BFC: E05C1000 8086482D
	v_mfma_f32_16x16x32_fp8_fp8 v[8:11], a[116:117], a[12:13], v[8:11]// 000000003C04: D3F30008 1C221974
	v_mfma_f32_16x16x32_fp8_fp8 v[8:11], a[118:119], a[14:15], v[8:11]// 000000003C0C: D3F30008 1C221D76
	v_fma_f32 v124, v12, v4, v124                              // 000000003C14: D1CB007C 05F2090C
	v_fma_f32 v125, v13, v4, v125                              // 000000003C1C: D1CB007D 05F6090D
	v_fma_f32 v126, v14, v4, v126                              // 000000003C24: D1CB007E 05FA090E
	v_fma_f32 v127, v15, v4, v127                              // 000000003C2C: D1CB007F 05FE090F
	v_mfma_f32_16x16x32_fp8_fp8 v[12:15], a[120:121], a[8:9], 0// 000000003C34: D3F3000C 1A021178
	v_mfma_f32_16x16x32_fp8_fp8 v[12:15], a[122:123], a[10:11], v[12:15]// 000000003C3C: D3F3000C 1C32157A
	buffer_load_dwordx4 a[76:79], v45, s[24:27], 0 offen offset:1024// 000000003C44: E05C1400 80864C2D
	v_mfma_f32_16x16x32_fp8_fp8 v[12:15], a[124:125], a[12:13], v[12:15]// 000000003C4C: D3F3000C 1C32197C
	v_mfma_f32_16x16x32_fp8_fp8 v[12:15], a[126:127], a[14:15], v[12:15]// 000000003C54: D3F3000C 1C321D7E
	v_fma_f32 v132, v8, v6, v132                               // 000000003C5C: D1CB0084 06120D08
	v_fma_f32 v133, v9, v6, v133                               // 000000003C64: D1CB0085 06160D09
	v_fma_f32 v134, v10, v6, v134                              // 000000003C6C: D1CB0086 061A0D0A
	v_fma_f32 v135, v11, v6, v135                              // 000000003C74: D1CB0087 061E0D0B
	v_mul_f32_dpp v4, v27, v35 row_newbcast:2 row_mask:0xf bank_mask:0xf// 000000003C7C: 0A0846FA FF01521B
	v_mfma_f32_16x16x32_fp8_fp8 v[8:11], a[128:129], a[8:9], 0 // 000000003C84: D3F30008 1A021180
	v_mfma_f32_16x16x32_fp8_fp8 v[8:11], a[130:131], a[10:11], v[8:11]// 000000003C8C: D3F30008 1C221582
	buffer_load_dwordx4 a[80:83], v46, s[24:27], 0 offen       // 000000003C94: E05C1000 8086502E
	v_mfma_f32_16x16x32_fp8_fp8 v[8:11], a[132:133], a[12:13], v[8:11]// 000000003C9C: D3F30008 1C221984
	v_mfma_f32_16x16x32_fp8_fp8 v[8:11], a[134:135], a[14:15], v[8:11]// 000000003CA4: D3F30008 1C221D86
	v_fma_f32 v140, v12, v6, v140                              // 000000003CAC: D1CB008C 06320D0C
	v_fma_f32 v141, v13, v6, v141                              // 000000003CB4: D1CB008D 06360D0D
	v_fma_f32 v142, v14, v6, v142                              // 000000003CBC: D1CB008E 063A0D0E
	v_fma_f32 v143, v15, v6, v143                              // 000000003CC4: D1CB008F 063E0D0F
	v_mfma_f32_16x16x32_fp8_fp8 v[12:15], a[136:137], a[8:9], 0// 000000003CCC: D3F3000C 1A021188
	v_mfma_f32_16x16x32_fp8_fp8 v[12:15], a[138:139], a[10:11], v[12:15]// 000000003CD4: D3F3000C 1C32158A
	buffer_load_dwordx4 a[84:87], v46, s[24:27], 0 offen offset:1024// 000000003CDC: E05C1400 8086542E
	v_mfma_f32_16x16x32_fp8_fp8 v[12:15], a[140:141], a[12:13], v[12:15]// 000000003CE4: D3F3000C 1C32198C
	v_mfma_f32_16x16x32_fp8_fp8 v[12:15], a[142:143], a[14:15], v[12:15]// 000000003CEC: D3F3000C 1C321D8E
	v_fma_f32 v148, v8, v4, v148                               // 000000003CF4: D1CB0094 06520908
	v_fma_f32 v149, v9, v4, v149                               // 000000003CFC: D1CB0095 06560909
	v_fma_f32 v150, v10, v4, v150                              // 000000003D04: D1CB0096 065A090A
	v_fma_f32 v151, v11, v4, v151                              // 000000003D0C: D1CB0097 065E090B
	v_mul_f32_dpp v6, v27, v35 row_newbcast:3 row_mask:0xf bank_mask:0xf// 000000003D14: 0A0C46FA FF01531B
	v_mfma_f32_16x16x32_fp8_fp8 v[8:11], a[144:145], a[8:9], 0 // 000000003D1C: D3F30008 1A021190
	v_mfma_f32_16x16x32_fp8_fp8 v[8:11], a[146:147], a[10:11], v[8:11]// 000000003D24: D3F30008 1C221592
	buffer_load_dwordx4 a[88:91], v47, s[24:27], 0 offen       // 000000003D2C: E05C1000 8086582F
	v_mfma_f32_16x16x32_fp8_fp8 v[8:11], a[148:149], a[12:13], v[8:11]// 000000003D34: D3F30008 1C221994
	s_add_u32 s60, 0x180, s80                                  // 000000003D3C: 803C50FF 00000180
	s_cmp_lt_u32 s60, s81                                      // 000000003D44: BF0A513C
	s_cselect_b32 s57, s57, 0                                  // 000000003D48: 85398039
	s_cselect_b32 s3, s3, 0                                    // 000000003D4C: 85038003
	v_mfma_f32_16x16x32_fp8_fp8 v[8:11], a[150:151], a[14:15], v[8:11]// 000000003D50: D3F30008 1C221D96
	s_add_u32 s60, 0x100, s80                                  // 000000003D58: 803C50FF 00000100
	s_cmp_lt_u32 s60, s81                                      // 000000003D60: BF0A513C
	s_cselect_b32 s58, s58, 0                                  // 000000003D64: 853A803A
	v_fma_f32 v156, v12, v4, v156                              // 000000003D68: D1CB009C 0672090C
	v_fma_f32 v157, v13, v4, v157                              // 000000003D70: D1CB009D 0676090D
	v_fma_f32 v158, v14, v4, v158                              // 000000003D78: D1CB009E 067A090E
	v_fma_f32 v159, v15, v4, v159                              // 000000003D80: D1CB009F 067E090F
	v_mfma_f32_16x16x32_fp8_fp8 v[12:15], a[152:153], a[8:9], 0// 000000003D88: D3F3000C 1A021198
	v_mfma_f32_16x16x32_fp8_fp8 v[12:15], a[154:155], a[10:11], v[12:15]// 000000003D90: D3F3000C 1C32159A
	buffer_load_dwordx4 a[92:95], v47, s[24:27], 0 offen offset:1024// 000000003D98: E05C1400 80865C2F
	s_add_u32 s20, s57, s20                                    // 000000003DA0: 80141439
	s_addc_u32 s21, 0, s21                                     // 000000003DA4: 82151580
	s_add_u32 s28, s3, s28                                     // 000000003DA8: 801C1C03
	s_addc_u32 s29, 0, s29                                     // 000000003DAC: 821D1D80
	v_mfma_f32_16x16x32_fp8_fp8 v[12:15], a[156:157], a[12:13], v[12:15]// 000000003DB0: D3F3000C 1C32199C
	s_add_u32 s84, s83, s84                                    // 000000003DB8: 80545453
	s_addc_u32 s85, 0, s85                                     // 000000003DBC: 82555580
	v_mfma_f32_16x16x32_fp8_fp8 v[12:15], a[158:159], a[14:15], v[12:15]// 000000003DC0: D3F3000C 1C321D9E
	v_fma_f32 v164, v8, v6, v164                               // 000000003DC8: D1CB00A4 06920D08
	v_fma_f32 v165, v9, v6, v165                               // 000000003DD0: D1CB00A5 06960D09
	v_fma_f32 v166, v10, v6, v166                              // 000000003DD8: D1CB00A6 069A0D0A
	v_fma_f32 v167, v11, v6, v167                              // 000000003DE0: D1CB00A7 069E0D0B
	v_fma_f32 v172, v12, v6, v172                              // 000000003DE8: D1CB00AC 06B20D0C
	v_fma_f32 v173, v13, v6, v173                              // 000000003DF0: D1CB00AD 06B60D0D
	v_fma_f32 v174, v14, v6, v174                              // 000000003DF8: D1CB00AE 06BA0D0E
	v_fma_f32 v175, v15, v6, v175                              // 000000003E00: D1CB00AF 06BE0D0F
	s_add_u32 s24, s58, s24                                    // 000000003E08: 8018183A
	s_addc_u32 s25, 0, s25                                     // 000000003E0C: 82191980
	s_addk_i32 s80, 0x80                                       // 000000003E10: B7500080
	s_cmp_lt_i32 s80, s81                                      // 000000003E14: BF045150
	s_cbranch_scc0 label_07BE                                  // 000000003E18: BF8402B7
	s_waitcnt vmcnt(14) lgkmcnt(0)                             // 000000003E1C: BF8C007E
	s_barrier                                                  // 000000003E20: BF8A0000
	v_mov_b32_e32 v34, v32                                     // 000000003E24: 7E440320
	v_mov_b32_e32 v35, v33                                     // 000000003E28: 7E460321
	v_mul_f32_dpp v4, v24, v34 row_newbcast:0 row_mask:0xf bank_mask:0xf// 000000003E2C: 0A0844FA FF015018
	v_mfma_f32_16x16x32_fp8_fp8 v[8:11], a[32:33], a[16:17], 0 // 000000003E34: D3F30008 1A022120
	buffer_load_dword v27, v23, s[32:35], 0 offen              // 000000003E3C: E0501000 80081B17
	v_mfma_f32_16x16x32_fp8_fp8 v[8:11], a[34:35], a[18:19], v[8:11]// 000000003E44: D3F30008 1C222522
	buffer_load_dwordx4 a[96:99], v40, s[84:87], 0 offen       // 000000003E4C: E05C1000 80956028
	v_mfma_f32_16x16x32_fp8_fp8 v[8:11], a[36:37], a[20:21], v[8:11]// 000000003E54: D3F30008 1C222924
	v_mfma_f32_16x16x32_fp8_fp8 v[8:11], a[38:39], a[22:23], v[8:11]// 000000003E5C: D3F30008 1C222D26
	v_mul_f32_dpp v6, v24, v35 row_newbcast:0 row_mask:0xf bank_mask:0xf// 000000003E64: 0A0C46FA FF015018
	v_mfma_f32_16x16x32_fp8_fp8 v[12:15], a[32:33], a[24:25], 0// 000000003E6C: D3F3000C 1A023120
	v_mfma_f32_16x16x32_fp8_fp8 v[12:15], a[34:35], a[26:27], v[12:15]// 000000003E74: D3F3000C 1C323522
	buffer_load_dwordx4 a[100:103], v40, s[84:87], 0 offen offset:1024// 000000003E7C: E05C1400 80956428
	v_mfma_f32_16x16x32_fp8_fp8 v[12:15], a[36:37], a[28:29], v[12:15]// 000000003E84: D3F3000C 1C323924
	v_mfma_f32_16x16x32_fp8_fp8 v[12:15], a[38:39], a[30:31], v[12:15]// 000000003E8C: D3F3000C 1C323D26
	v_fma_f32 v48, v8, v4, v48                                 // 000000003E94: D1CB0030 04C20908
	v_fma_f32 v49, v9, v4, v49                                 // 000000003E9C: D1CB0031 04C60909
	v_fma_f32 v50, v10, v4, v50                                // 000000003EA4: D1CB0032 04CA090A
	v_fma_f32 v51, v11, v4, v51                                // 000000003EAC: D1CB0033 04CE090B
	s_waitcnt vmcnt(15)                                        // 000000003EB4: BF8C0F7F
	v_mul_f32_dpp v4, v24, v34 row_newbcast:0 row_mask:0xf bank_mask:0xf// 000000003EB8: 0A0844FA FF015018
	v_mfma_f32_16x16x32_fp8_fp8 v[8:11], a[40:41], a[16:17], 0 // 000000003EC0: D3F30008 1A022128
	v_mfma_f32_16x16x32_fp8_fp8 v[8:11], a[42:43], a[18:19], v[8:11]// 000000003EC8: D3F30008 1C22252A
	buffer_load_dwordx4 a[104:107], v41, s[84:87], 0 offen     // 000000003ED0: E05C1000 80956829
	v_mfma_f32_16x16x32_fp8_fp8 v[8:11], a[44:45], a[20:21], v[8:11]// 000000003ED8: D3F30008 1C22292C
	v_mfma_f32_16x16x32_fp8_fp8 v[8:11], a[46:47], a[22:23], v[8:11]// 000000003EE0: D3F30008 1C222D2E
	v_fma_f32 v52, v12, v6, v52                                // 000000003EE8: D1CB0034 04D20D0C
	v_fma_f32 v53, v13, v6, v53                                // 000000003EF0: D1CB0035 04D60D0D
	v_fma_f32 v54, v14, v6, v54                                // 000000003EF8: D1CB0036 04DA0D0E
	v_fma_f32 v55, v15, v6, v55                                // 000000003F00: D1CB0037 04DE0D0F
	v_mul_f32_dpp v6, v24, v35 row_newbcast:0 row_mask:0xf bank_mask:0xf// 000000003F08: 0A0C46FA FF015018
	v_mfma_f32_16x16x32_fp8_fp8 v[12:15], a[40:41], a[24:25], 0// 000000003F10: D3F3000C 1A023128
	v_mfma_f32_16x16x32_fp8_fp8 v[12:15], a[42:43], a[26:27], v[12:15]// 000000003F18: D3F3000C 1C32352A
	buffer_load_dwordx4 a[108:111], v41, s[84:87], 0 offen offset:1024// 000000003F20: E05C1400 80956C29
	v_mfma_f32_16x16x32_fp8_fp8 v[12:15], a[44:45], a[28:29], v[12:15]// 000000003F28: D3F3000C 1C32392C
	v_mfma_f32_16x16x32_fp8_fp8 v[12:15], a[46:47], a[30:31], v[12:15]// 000000003F30: D3F3000C 1C323D2E
	v_fma_f32 v56, v8, v4, v56                                 // 000000003F38: D1CB0038 04E20908
	v_fma_f32 v57, v9, v4, v57                                 // 000000003F40: D1CB0039 04E60909
	v_fma_f32 v58, v10, v4, v58                                // 000000003F48: D1CB003A 04EA090A
	v_fma_f32 v59, v11, v4, v59                                // 000000003F50: D1CB003B 04EE090B
	s_waitcnt vmcnt(15)                                        // 000000003F58: BF8C0F7F
	v_mul_f32_dpp v4, v24, v34 row_newbcast:1 row_mask:0xf bank_mask:0xf// 000000003F5C: 0A0844FA FF015118
	v_mfma_f32_16x16x32_fp8_fp8 v[8:11], a[48:49], a[16:17], 0 // 000000003F64: D3F30008 1A022130
	v_mfma_f32_16x16x32_fp8_fp8 v[8:11], a[50:51], a[18:19], v[8:11]// 000000003F6C: D3F30008 1C222532
	buffer_load_dwordx4 a[112:115], v42, s[84:87], 0 offen     // 000000003F74: E05C1000 8095702A
	v_mfma_f32_16x16x32_fp8_fp8 v[8:11], a[52:53], a[20:21], v[8:11]// 000000003F7C: D3F30008 1C222934
	v_mfma_f32_16x16x32_fp8_fp8 v[8:11], a[54:55], a[22:23], v[8:11]// 000000003F84: D3F30008 1C222D36
	v_fma_f32 v60, v12, v6, v60                                // 000000003F8C: D1CB003C 04F20D0C
	v_fma_f32 v61, v13, v6, v61                                // 000000003F94: D1CB003D 04F60D0D
	v_fma_f32 v62, v14, v6, v62                                // 000000003F9C: D1CB003E 04FA0D0E
	v_fma_f32 v63, v15, v6, v63                                // 000000003FA4: D1CB003F 04FE0D0F
	v_mul_f32_dpp v6, v24, v35 row_newbcast:1 row_mask:0xf bank_mask:0xf// 000000003FAC: 0A0C46FA FF015118
	v_mfma_f32_16x16x32_fp8_fp8 v[12:15], a[48:49], a[24:25], 0// 000000003FB4: D3F3000C 1A023130
	v_mfma_f32_16x16x32_fp8_fp8 v[12:15], a[50:51], a[26:27], v[12:15]// 000000003FBC: D3F3000C 1C323532
	buffer_load_dwordx4 a[116:119], v42, s[84:87], 0 offen offset:1024// 000000003FC4: E05C1400 8095742A
	v_mfma_f32_16x16x32_fp8_fp8 v[12:15], a[52:53], a[28:29], v[12:15]// 000000003FCC: D3F3000C 1C323934
	v_mfma_f32_16x16x32_fp8_fp8 v[12:15], a[54:55], a[30:31], v[12:15]// 000000003FD4: D3F3000C 1C323D36
	v_fma_f32 v64, v8, v4, v64                                 // 000000003FDC: D1CB0040 05020908
	v_fma_f32 v65, v9, v4, v65                                 // 000000003FE4: D1CB0041 05060909
	v_fma_f32 v66, v10, v4, v66                                // 000000003FEC: D1CB0042 050A090A
	v_fma_f32 v67, v11, v4, v67                                // 000000003FF4: D1CB0043 050E090B
	s_waitcnt vmcnt(15)                                        // 000000003FFC: BF8C0F7F
	v_mul_f32_dpp v4, v24, v34 row_newbcast:1 row_mask:0xf bank_mask:0xf// 000000004000: 0A0844FA FF015118
	v_mfma_f32_16x16x32_fp8_fp8 v[8:11], a[56:57], a[16:17], 0 // 000000004008: D3F30008 1A022138
	v_mfma_f32_16x16x32_fp8_fp8 v[8:11], a[58:59], a[18:19], v[8:11]// 000000004010: D3F30008 1C22253A
	buffer_load_dwordx4 a[120:123], v43, s[84:87], 0 offen     // 000000004018: E05C1000 8095782B
	v_mfma_f32_16x16x32_fp8_fp8 v[8:11], a[60:61], a[20:21], v[8:11]// 000000004020: D3F30008 1C22293C
	v_mfma_f32_16x16x32_fp8_fp8 v[8:11], a[62:63], a[22:23], v[8:11]// 000000004028: D3F30008 1C222D3E
	v_fma_f32 v68, v12, v6, v68                                // 000000004030: D1CB0044 05120D0C
	v_fma_f32 v69, v13, v6, v69                                // 000000004038: D1CB0045 05160D0D
	v_fma_f32 v70, v14, v6, v70                                // 000000004040: D1CB0046 051A0D0E
	v_fma_f32 v71, v15, v6, v71                                // 000000004048: D1CB0047 051E0D0F
	v_mul_f32_dpp v6, v24, v35 row_newbcast:1 row_mask:0xf bank_mask:0xf// 000000004050: 0A0C46FA FF015118
	v_mfma_f32_16x16x32_fp8_fp8 v[12:15], a[56:57], a[24:25], 0// 000000004058: D3F3000C 1A023138
	v_mfma_f32_16x16x32_fp8_fp8 v[12:15], a[58:59], a[26:27], v[12:15]// 000000004060: D3F3000C 1C32353A
	buffer_load_dwordx4 a[124:127], v43, s[84:87], 0 offen offset:1024// 000000004068: E05C1400 80957C2B
	v_mfma_f32_16x16x32_fp8_fp8 v[12:15], a[60:61], a[28:29], v[12:15]// 000000004070: D3F3000C 1C32393C
	v_mfma_f32_16x16x32_fp8_fp8 v[12:15], a[62:63], a[30:31], v[12:15]// 000000004078: D3F3000C 1C323D3E
	v_fma_f32 v72, v8, v4, v72                                 // 000000004080: D1CB0048 05220908
	v_fma_f32 v73, v9, v4, v73                                 // 000000004088: D1CB0049 05260909
	v_fma_f32 v74, v10, v4, v74                                // 000000004090: D1CB004A 052A090A
	v_fma_f32 v75, v11, v4, v75                                // 000000004098: D1CB004B 052E090B
	s_waitcnt vmcnt(15)                                        // 0000000040A0: BF8C0F7F
	v_mul_f32_dpp v4, v24, v34 row_newbcast:2 row_mask:0xf bank_mask:0xf// 0000000040A4: 0A0844FA FF015218
	v_mfma_f32_16x16x32_fp8_fp8 v[8:11], a[64:65], a[16:17], 0 // 0000000040AC: D3F30008 1A022140
	v_mfma_f32_16x16x32_fp8_fp8 v[8:11], a[66:67], a[18:19], v[8:11]// 0000000040B4: D3F30008 1C222542
	buffer_load_dwordx4 a[128:131], v44, s[84:87], 0 offen     // 0000000040BC: E05C1000 8095802C
	v_mfma_f32_16x16x32_fp8_fp8 v[8:11], a[68:69], a[20:21], v[8:11]// 0000000040C4: D3F30008 1C222944
	v_mfma_f32_16x16x32_fp8_fp8 v[8:11], a[70:71], a[22:23], v[8:11]// 0000000040CC: D3F30008 1C222D46
	v_fma_f32 v76, v12, v6, v76                                // 0000000040D4: D1CB004C 05320D0C
	v_fma_f32 v77, v13, v6, v77                                // 0000000040DC: D1CB004D 05360D0D
	v_fma_f32 v78, v14, v6, v78                                // 0000000040E4: D1CB004E 053A0D0E
	v_fma_f32 v79, v15, v6, v79                                // 0000000040EC: D1CB004F 053E0D0F
	v_mul_f32_dpp v6, v24, v35 row_newbcast:2 row_mask:0xf bank_mask:0xf// 0000000040F4: 0A0C46FA FF015218
	v_mfma_f32_16x16x32_fp8_fp8 v[12:15], a[64:65], a[24:25], 0// 0000000040FC: D3F3000C 1A023140
	v_mfma_f32_16x16x32_fp8_fp8 v[12:15], a[66:67], a[26:27], v[12:15]// 000000004104: D3F3000C 1C323542
	buffer_load_dwordx4 a[132:135], v44, s[84:87], 0 offen offset:1024// 00000000410C: E05C1400 8095842C
	v_mfma_f32_16x16x32_fp8_fp8 v[12:15], a[68:69], a[28:29], v[12:15]// 000000004114: D3F3000C 1C323944
	v_mfma_f32_16x16x32_fp8_fp8 v[12:15], a[70:71], a[30:31], v[12:15]// 00000000411C: D3F3000C 1C323D46
	v_fma_f32 v80, v8, v4, v80                                 // 000000004124: D1CB0050 05420908
	v_fma_f32 v81, v9, v4, v81                                 // 00000000412C: D1CB0051 05460909
	v_fma_f32 v82, v10, v4, v82                                // 000000004134: D1CB0052 054A090A
	v_fma_f32 v83, v11, v4, v83                                // 00000000413C: D1CB0053 054E090B
	s_waitcnt vmcnt(15)                                        // 000000004144: BF8C0F7F
	v_mul_f32_dpp v4, v24, v34 row_newbcast:2 row_mask:0xf bank_mask:0xf// 000000004148: 0A0844FA FF015218
	v_mfma_f32_16x16x32_fp8_fp8 v[8:11], a[72:73], a[16:17], 0 // 000000004150: D3F30008 1A022148
	v_mfma_f32_16x16x32_fp8_fp8 v[8:11], a[74:75], a[18:19], v[8:11]// 000000004158: D3F30008 1C22254A
	buffer_load_dwordx4 a[136:139], v45, s[84:87], 0 offen     // 000000004160: E05C1000 8095882D
	v_mfma_f32_16x16x32_fp8_fp8 v[8:11], a[76:77], a[20:21], v[8:11]// 000000004168: D3F30008 1C22294C
	v_mfma_f32_16x16x32_fp8_fp8 v[8:11], a[78:79], a[22:23], v[8:11]// 000000004170: D3F30008 1C222D4E
	v_fma_f32 v84, v12, v6, v84                                // 000000004178: D1CB0054 05520D0C
	v_fma_f32 v85, v13, v6, v85                                // 000000004180: D1CB0055 05560D0D
	v_fma_f32 v86, v14, v6, v86                                // 000000004188: D1CB0056 055A0D0E
	v_fma_f32 v87, v15, v6, v87                                // 000000004190: D1CB0057 055E0D0F
	v_mul_f32_dpp v6, v24, v35 row_newbcast:2 row_mask:0xf bank_mask:0xf// 000000004198: 0A0C46FA FF015218
	v_mfma_f32_16x16x32_fp8_fp8 v[12:15], a[72:73], a[24:25], 0// 0000000041A0: D3F3000C 1A023148
	v_mfma_f32_16x16x32_fp8_fp8 v[12:15], a[74:75], a[26:27], v[12:15]// 0000000041A8: D3F3000C 1C32354A
	buffer_load_dwordx4 a[140:143], v45, s[84:87], 0 offen offset:1024// 0000000041B0: E05C1400 80958C2D
	v_mfma_f32_16x16x32_fp8_fp8 v[12:15], a[76:77], a[28:29], v[12:15]// 0000000041B8: D3F3000C 1C32394C
	v_mfma_f32_16x16x32_fp8_fp8 v[12:15], a[78:79], a[30:31], v[12:15]// 0000000041C0: D3F3000C 1C323D4E
	v_fma_f32 v88, v8, v4, v88                                 // 0000000041C8: D1CB0058 05620908
	v_fma_f32 v89, v9, v4, v89                                 // 0000000041D0: D1CB0059 05660909
	v_fma_f32 v90, v10, v4, v90                                // 0000000041D8: D1CB005A 056A090A
	v_fma_f32 v91, v11, v4, v91                                // 0000000041E0: D1CB005B 056E090B
	s_waitcnt vmcnt(15)                                        // 0000000041E8: BF8C0F7F
	v_mul_f32_dpp v4, v24, v34 row_newbcast:3 row_mask:0xf bank_mask:0xf// 0000000041EC: 0A0844FA FF015318
	v_mfma_f32_16x16x32_fp8_fp8 v[8:11], a[80:81], a[16:17], 0 // 0000000041F4: D3F30008 1A022150
	v_mfma_f32_16x16x32_fp8_fp8 v[8:11], a[82:83], a[18:19], v[8:11]// 0000000041FC: D3F30008 1C222552
	buffer_load_dwordx4 a[144:147], v46, s[84:87], 0 offen     // 000000004204: E05C1000 8095902E
	v_mfma_f32_16x16x32_fp8_fp8 v[8:11], a[84:85], a[20:21], v[8:11]// 00000000420C: D3F30008 1C222954
	v_mfma_f32_16x16x32_fp8_fp8 v[8:11], a[86:87], a[22:23], v[8:11]// 000000004214: D3F30008 1C222D56
	v_fma_f32 v92, v12, v6, v92                                // 00000000421C: D1CB005C 05720D0C
	v_fma_f32 v93, v13, v6, v93                                // 000000004224: D1CB005D 05760D0D
	v_fma_f32 v94, v14, v6, v94                                // 00000000422C: D1CB005E 057A0D0E
	v_fma_f32 v95, v15, v6, v95                                // 000000004234: D1CB005F 057E0D0F
	v_mul_f32_dpp v6, v24, v35 row_newbcast:3 row_mask:0xf bank_mask:0xf// 00000000423C: 0A0C46FA FF015318
	v_mfma_f32_16x16x32_fp8_fp8 v[12:15], a[80:81], a[24:25], 0// 000000004244: D3F3000C 1A023150
	v_mfma_f32_16x16x32_fp8_fp8 v[12:15], a[82:83], a[26:27], v[12:15]// 00000000424C: D3F3000C 1C323552
	buffer_load_dwordx4 a[148:151], v46, s[84:87], 0 offen offset:1024// 000000004254: E05C1400 8095942E
	v_mfma_f32_16x16x32_fp8_fp8 v[12:15], a[84:85], a[28:29], v[12:15]// 00000000425C: D3F3000C 1C323954
	v_mfma_f32_16x16x32_fp8_fp8 v[12:15], a[86:87], a[30:31], v[12:15]// 000000004264: D3F3000C 1C323D56
	v_fma_f32 v96, v8, v4, v96                                 // 00000000426C: D1CB0060 05820908
	v_fma_f32 v97, v9, v4, v97                                 // 000000004274: D1CB0061 05860909
	v_fma_f32 v98, v10, v4, v98                                // 00000000427C: D1CB0062 058A090A
	v_fma_f32 v99, v11, v4, v99                                // 000000004284: D1CB0063 058E090B
	s_waitcnt vmcnt(15)                                        // 00000000428C: BF8C0F7F
	v_mul_f32_dpp v4, v24, v34 row_newbcast:3 row_mask:0xf bank_mask:0xf// 000000004290: 0A0844FA FF015318
	v_mfma_f32_16x16x32_fp8_fp8 v[8:11], a[88:89], a[16:17], 0 // 000000004298: D3F30008 1A022158
	v_mfma_f32_16x16x32_fp8_fp8 v[8:11], a[90:91], a[18:19], v[8:11]// 0000000042A0: D3F30008 1C22255A
	buffer_load_dwordx4 a[152:155], v47, s[84:87], 0 offen     // 0000000042A8: E05C1000 8095982F
	v_mfma_f32_16x16x32_fp8_fp8 v[8:11], a[92:93], a[20:21], v[8:11]// 0000000042B0: D3F30008 1C22295C
	v_mfma_f32_16x16x32_fp8_fp8 v[8:11], a[94:95], a[22:23], v[8:11]// 0000000042B8: D3F30008 1C222D5E
	v_fma_f32 v100, v12, v6, v100                              // 0000000042C0: D1CB0064 05920D0C
	v_fma_f32 v101, v13, v6, v101                              // 0000000042C8: D1CB0065 05960D0D
	v_fma_f32 v102, v14, v6, v102                              // 0000000042D0: D1CB0066 059A0D0E
	v_fma_f32 v103, v15, v6, v103                              // 0000000042D8: D1CB0067 059E0D0F
	v_mul_f32_dpp v6, v24, v35 row_newbcast:3 row_mask:0xf bank_mask:0xf// 0000000042E0: 0A0C46FA FF015318
	v_mfma_f32_16x16x32_fp8_fp8 v[12:15], a[88:89], a[24:25], 0// 0000000042E8: D3F3000C 1A023158
	v_mfma_f32_16x16x32_fp8_fp8 v[12:15], a[90:91], a[26:27], v[12:15]// 0000000042F0: D3F3000C 1C32355A
	buffer_load_dwordx4 a[156:159], v47, s[84:87], 0 offen offset:1024// 0000000042F8: E05C1400 80959C2F
	buffer_load_dword v36, s[20:23], 0 offen lds               // 000000004300: E0511000 80050024
	s_add_u32 m0, 0x100, s49                                   // 000000004308: 807C31FF 00000100
	s_add_u32 s60, 0x80, s80                                   // 000000004310: 803C50FF 00000080
	s_cmp_lt_u32 s60, s81                                      // 000000004318: BF0A513C
	s_cselect_b32 s83, s83, 0                                  // 00000000431C: 85538053
	s_cselect_b32 s4, s4, 0                                    // 000000004320: 85048004
	v_mfma_f32_16x16x32_fp8_fp8 v[12:15], a[92:93], a[28:29], v[12:15]// 000000004324: D3F3000C 1C32395C
	s_add_u32 s32, s4, s32                                     // 00000000432C: 80202004
	s_addc_u32 s33, 0, s33                                     // 000000004330: 82212180
	v_mfma_f32_16x16x32_fp8_fp8 v[12:15], a[94:95], a[30:31], v[12:15]// 000000004334: D3F3000C 1C323D5E
	buffer_load_dword v37, s[20:23], 0 offen lds               // 00000000433C: E0511000 80050025
	s_add_u32 m0, 0x200, s49                                   // 000000004344: 807C31FF 00000200
	v_fma_f32 v104, v8, v4, v104                               // 00000000434C: D1CB0068 05A20908
	v_fma_f32 v105, v9, v4, v105                               // 000000004354: D1CB0069 05A60909
	v_fma_f32 v106, v10, v4, v106                              // 00000000435C: D1CB006A 05AA090A
	v_fma_f32 v107, v11, v4, v107                              // 000000004364: D1CB006B 05AE090B
	v_fma_f32 v108, v12, v6, v108                              // 00000000436C: D1CB006C 05B20D0C
	v_fma_f32 v109, v13, v6, v109                              // 000000004374: D1CB006D 05B60D0D
	v_fma_f32 v110, v14, v6, v110                              // 00000000437C: D1CB006E 05BA0D0E
	v_fma_f32 v111, v15, v6, v111                              // 000000004384: D1CB006F 05BE0D0F
	buffer_load_dword v38, s[20:23], 0 offen lds               // 00000000438C: E0511000 80050026
	s_add_u32 m0, 0x300, s49                                   // 000000004394: 807C31FF 00000300
	buffer_load_dword v39, s[20:23], 0 offen lds               // 00000000439C: E0511000 80050027
	s_add_u32 m0, 0, s48                                       // 0000000043A4: 807C3080
	buffer_load_dword v32, v28, s[28:31], 0 offen              // 0000000043A8: E0501000 8007201C
	buffer_load_dword v33, v29, s[28:31], 0 offen              // 0000000043B0: E0501000 8007211D
	s_waitcnt vmcnt(6)                                         // 0000000043B8: BF8C0F76
	v_mul_f32_dpp v4, v27, v34 row_newbcast:0 row_mask:0xf bank_mask:0xf// 0000000043BC: 0A0844FA FF01501B
	v_mfma_f32_16x16x32_fp8_fp8 v[8:11], a[96:97], a[16:17], 0 // 0000000043C4: D3F30008 1A022160
	buffer_load_dword v24, v22, s[32:35], 0 offen              // 0000000043CC: E0501000 80081816
	v_mfma_f32_16x16x32_fp8_fp8 v[8:11], a[98:99], a[18:19], v[8:11]// 0000000043D4: D3F30008 1C222562
	buffer_load_dwordx4 a[32:35], v40, s[24:27], 0 offen       // 0000000043DC: E05C1000 80862028
	v_mfma_f32_16x16x32_fp8_fp8 v[8:11], a[100:101], a[20:21], v[8:11]// 0000000043E4: D3F30008 1C222964
	v_mfma_f32_16x16x32_fp8_fp8 v[8:11], a[102:103], a[22:23], v[8:11]// 0000000043EC: D3F30008 1C222D66
	ds_read_b128 a[0:3], v2                                    // 0000000043F4: DBFE0000 00000002
	ds_read_b128 a[4:7], v2 offset:64                          // 0000000043FC: DBFE0040 04000002
	v_mfma_f32_16x16x32_fp8_fp8 v[12:15], a[104:105], a[16:17], 0// 000000004404: D3F3000C 1A022168
	v_mfma_f32_16x16x32_fp8_fp8 v[12:15], a[106:107], a[18:19], v[12:15]// 00000000440C: D3F3000C 1C32256A
	buffer_load_dwordx4 a[36:39], v40, s[24:27], 0 offen offset:1024// 000000004414: E05C1400 80862428
	v_mfma_f32_16x16x32_fp8_fp8 v[12:15], a[108:109], a[20:21], v[12:15]// 00000000441C: D3F3000C 1C32296C
	v_mfma_f32_16x16x32_fp8_fp8 v[12:15], a[110:111], a[22:23], v[12:15]// 000000004424: D3F3000C 1C322D6E
	ds_read_b128 a[8:11], v2 offset:512                        // 00000000442C: DBFE0200 08000002
	ds_read_b128 a[12:15], v2 offset:576                       // 000000004434: DBFE0240 0C000002
	v_fma_f32 v112, v8, v4, v112                               // 00000000443C: D1CB0070 05C20908
	v_fma_f32 v113, v9, v4, v113                               // 000000004444: D1CB0071 05C60909
	v_fma_f32 v114, v10, v4, v114                              // 00000000444C: D1CB0072 05CA090A
	v_fma_f32 v115, v11, v4, v115                              // 000000004454: D1CB0073 05CE090B
	v_mul_f32_dpp v6, v27, v34 row_newbcast:1 row_mask:0xf bank_mask:0xf// 00000000445C: 0A0C44FA FF01511B
	v_mfma_f32_16x16x32_fp8_fp8 v[8:11], a[112:113], a[16:17], 0// 000000004464: D3F30008 1A022170
	v_mfma_f32_16x16x32_fp8_fp8 v[8:11], a[114:115], a[18:19], v[8:11]// 00000000446C: D3F30008 1C222572
	buffer_load_dwordx4 a[40:43], v41, s[24:27], 0 offen       // 000000004474: E05C1000 80862829
	v_mfma_f32_16x16x32_fp8_fp8 v[8:11], a[116:117], a[20:21], v[8:11]// 00000000447C: D3F30008 1C222974
	v_mfma_f32_16x16x32_fp8_fp8 v[8:11], a[118:119], a[22:23], v[8:11]// 000000004484: D3F30008 1C222D76
	v_fma_f32 v120, v12, v4, v120                              // 00000000448C: D1CB0078 05E2090C
	v_fma_f32 v121, v13, v4, v121                              // 000000004494: D1CB0079 05E6090D
	v_fma_f32 v122, v14, v4, v122                              // 00000000449C: D1CB007A 05EA090E
	v_fma_f32 v123, v15, v4, v123                              // 0000000044A4: D1CB007B 05EE090F
	v_mfma_f32_16x16x32_fp8_fp8 v[12:15], a[120:121], a[16:17], 0// 0000000044AC: D3F3000C 1A022178
	v_mfma_f32_16x16x32_fp8_fp8 v[12:15], a[122:123], a[18:19], v[12:15]// 0000000044B4: D3F3000C 1C32257A
	buffer_load_dwordx4 a[44:47], v41, s[24:27], 0 offen offset:1024// 0000000044BC: E05C1400 80862C29
	v_mfma_f32_16x16x32_fp8_fp8 v[12:15], a[124:125], a[20:21], v[12:15]// 0000000044C4: D3F3000C 1C32297C
	v_mfma_f32_16x16x32_fp8_fp8 v[12:15], a[126:127], a[22:23], v[12:15]// 0000000044CC: D3F3000C 1C322D7E
	v_fma_f32 v128, v8, v6, v128                               // 0000000044D4: D1CB0080 06020D08
	v_fma_f32 v129, v9, v6, v129                               // 0000000044DC: D1CB0081 06060D09
	v_fma_f32 v130, v10, v6, v130                              // 0000000044E4: D1CB0082 060A0D0A
	v_fma_f32 v131, v11, v6, v131                              // 0000000044EC: D1CB0083 060E0D0B
	v_mul_f32_dpp v4, v27, v34 row_newbcast:2 row_mask:0xf bank_mask:0xf// 0000000044F4: 0A0844FA FF01521B
	v_mfma_f32_16x16x32_fp8_fp8 v[8:11], a[128:129], a[16:17], 0// 0000000044FC: D3F30008 1A022180
	v_mfma_f32_16x16x32_fp8_fp8 v[8:11], a[130:131], a[18:19], v[8:11]// 000000004504: D3F30008 1C222582
	buffer_load_dwordx4 a[48:51], v42, s[24:27], 0 offen       // 00000000450C: E05C1000 8086302A
	v_mfma_f32_16x16x32_fp8_fp8 v[8:11], a[132:133], a[20:21], v[8:11]// 000000004514: D3F30008 1C222984
	v_mfma_f32_16x16x32_fp8_fp8 v[8:11], a[134:135], a[22:23], v[8:11]// 00000000451C: D3F30008 1C222D86
	v_fma_f32 v136, v12, v6, v136                              // 000000004524: D1CB0088 06220D0C
	v_fma_f32 v137, v13, v6, v137                              // 00000000452C: D1CB0089 06260D0D
	v_fma_f32 v138, v14, v6, v138                              // 000000004534: D1CB008A 062A0D0E
	v_fma_f32 v139, v15, v6, v139                              // 00000000453C: D1CB008B 062E0D0F
	v_mfma_f32_16x16x32_fp8_fp8 v[12:15], a[136:137], a[16:17], 0// 000000004544: D3F3000C 1A022188
	v_mfma_f32_16x16x32_fp8_fp8 v[12:15], a[138:139], a[18:19], v[12:15]// 00000000454C: D3F3000C 1C32258A
	buffer_load_dwordx4 a[52:55], v42, s[24:27], 0 offen offset:1024// 000000004554: E05C1400 8086342A
	v_mfma_f32_16x16x32_fp8_fp8 v[12:15], a[140:141], a[20:21], v[12:15]// 00000000455C: D3F3000C 1C32298C
	v_mfma_f32_16x16x32_fp8_fp8 v[12:15], a[142:143], a[22:23], v[12:15]// 000000004564: D3F3000C 1C322D8E
	v_fma_f32 v144, v8, v4, v144                               // 00000000456C: D1CB0090 06420908
	v_fma_f32 v145, v9, v4, v145                               // 000000004574: D1CB0091 06460909
	v_fma_f32 v146, v10, v4, v146                              // 00000000457C: D1CB0092 064A090A
	v_fma_f32 v147, v11, v4, v147                              // 000000004584: D1CB0093 064E090B
	v_mul_f32_dpp v6, v27, v34 row_newbcast:3 row_mask:0xf bank_mask:0xf// 00000000458C: 0A0C44FA FF01531B
	v_mfma_f32_16x16x32_fp8_fp8 v[8:11], a[144:145], a[16:17], 0// 000000004594: D3F30008 1A022190
	v_mfma_f32_16x16x32_fp8_fp8 v[8:11], a[146:147], a[18:19], v[8:11]// 00000000459C: D3F30008 1C222592
	buffer_load_dwordx4 a[56:59], v43, s[24:27], 0 offen       // 0000000045A4: E05C1000 8086382B
	v_mfma_f32_16x16x32_fp8_fp8 v[8:11], a[148:149], a[20:21], v[8:11]// 0000000045AC: D3F30008 1C222994
	v_mfma_f32_16x16x32_fp8_fp8 v[8:11], a[150:151], a[22:23], v[8:11]// 0000000045B4: D3F30008 1C222D96
	v_fma_f32 v152, v12, v4, v152                              // 0000000045BC: D1CB0098 0662090C
	v_fma_f32 v153, v13, v4, v153                              // 0000000045C4: D1CB0099 0666090D
	v_fma_f32 v154, v14, v4, v154                              // 0000000045CC: D1CB009A 066A090E
	v_fma_f32 v155, v15, v4, v155                              // 0000000045D4: D1CB009B 066E090F
	v_mfma_f32_16x16x32_fp8_fp8 v[12:15], a[152:153], a[16:17], 0// 0000000045DC: D3F3000C 1A022198
	v_mfma_f32_16x16x32_fp8_fp8 v[12:15], a[154:155], a[18:19], v[12:15]// 0000000045E4: D3F3000C 1C32259A
	buffer_load_dwordx4 a[60:63], v43, s[24:27], 0 offen offset:1024// 0000000045EC: E05C1400 80863C2B
	v_mfma_f32_16x16x32_fp8_fp8 v[12:15], a[156:157], a[20:21], v[12:15]// 0000000045F4: D3F3000C 1C32299C
	v_mfma_f32_16x16x32_fp8_fp8 v[12:15], a[158:159], a[22:23], v[12:15]// 0000000045FC: D3F3000C 1C322D9E
	v_fma_f32 v160, v8, v6, v160                               // 000000004604: D1CB00A0 06820D08
	v_fma_f32 v161, v9, v6, v161                               // 00000000460C: D1CB00A1 06860D09
	v_fma_f32 v162, v10, v6, v162                              // 000000004614: D1CB00A2 068A0D0A
	v_fma_f32 v163, v11, v6, v163                              // 00000000461C: D1CB00A3 068E0D0B
	v_mul_f32_dpp v4, v27, v35 row_newbcast:0 row_mask:0xf bank_mask:0xf// 000000004624: 0A0846FA FF01501B
	v_mfma_f32_16x16x32_fp8_fp8 v[8:11], a[96:97], a[24:25], 0 // 00000000462C: D3F30008 1A023160
	v_mfma_f32_16x16x32_fp8_fp8 v[8:11], a[98:99], a[26:27], v[8:11]// 000000004634: D3F30008 1C223562
	buffer_load_dwordx4 a[64:67], v44, s[24:27], 0 offen       // 00000000463C: E05C1000 8086402C
	v_mfma_f32_16x16x32_fp8_fp8 v[8:11], a[100:101], a[28:29], v[8:11]// 000000004644: D3F30008 1C223964
	v_mfma_f32_16x16x32_fp8_fp8 v[8:11], a[102:103], a[30:31], v[8:11]// 00000000464C: D3F30008 1C223D66
	v_fma_f32 v168, v12, v6, v168                              // 000000004654: D1CB00A8 06A20D0C
	v_fma_f32 v169, v13, v6, v169                              // 00000000465C: D1CB00A9 06A60D0D
	v_fma_f32 v170, v14, v6, v170                              // 000000004664: D1CB00AA 06AA0D0E
	v_fma_f32 v171, v15, v6, v171                              // 00000000466C: D1CB00AB 06AE0D0F
	v_mfma_f32_16x16x32_fp8_fp8 v[12:15], a[104:105], a[24:25], 0// 000000004674: D3F3000C 1A023168
	v_mfma_f32_16x16x32_fp8_fp8 v[12:15], a[106:107], a[26:27], v[12:15]// 00000000467C: D3F3000C 1C32356A
	buffer_load_dwordx4 a[68:71], v44, s[24:27], 0 offen offset:1024// 000000004684: E05C1400 8086442C
	v_mfma_f32_16x16x32_fp8_fp8 v[12:15], a[108:109], a[28:29], v[12:15]// 00000000468C: D3F3000C 1C32396C
	v_mfma_f32_16x16x32_fp8_fp8 v[12:15], a[110:111], a[30:31], v[12:15]// 000000004694: D3F3000C 1C323D6E
	v_fma_f32 v116, v8, v4, v116                               // 00000000469C: D1CB0074 05D20908
	v_fma_f32 v117, v9, v4, v117                               // 0000000046A4: D1CB0075 05D60909
	v_fma_f32 v118, v10, v4, v118                              // 0000000046AC: D1CB0076 05DA090A
	v_fma_f32 v119, v11, v4, v119                              // 0000000046B4: D1CB0077 05DE090B
	v_mul_f32_dpp v6, v27, v35 row_newbcast:1 row_mask:0xf bank_mask:0xf// 0000000046BC: 0A0C46FA FF01511B
	v_mfma_f32_16x16x32_fp8_fp8 v[8:11], a[112:113], a[24:25], 0// 0000000046C4: D3F30008 1A023170
	v_mfma_f32_16x16x32_fp8_fp8 v[8:11], a[114:115], a[26:27], v[8:11]// 0000000046CC: D3F30008 1C223572
	buffer_load_dwordx4 a[72:75], v45, s[24:27], 0 offen       // 0000000046D4: E05C1000 8086482D
	v_mfma_f32_16x16x32_fp8_fp8 v[8:11], a[116:117], a[28:29], v[8:11]// 0000000046DC: D3F30008 1C223974
	v_mfma_f32_16x16x32_fp8_fp8 v[8:11], a[118:119], a[30:31], v[8:11]// 0000000046E4: D3F30008 1C223D76
	v_fma_f32 v124, v12, v4, v124                              // 0000000046EC: D1CB007C 05F2090C
	v_fma_f32 v125, v13, v4, v125                              // 0000000046F4: D1CB007D 05F6090D
	v_fma_f32 v126, v14, v4, v126                              // 0000000046FC: D1CB007E 05FA090E
	v_fma_f32 v127, v15, v4, v127                              // 000000004704: D1CB007F 05FE090F
	v_mfma_f32_16x16x32_fp8_fp8 v[12:15], a[120:121], a[24:25], 0// 00000000470C: D3F3000C 1A023178
	v_mfma_f32_16x16x32_fp8_fp8 v[12:15], a[122:123], a[26:27], v[12:15]// 000000004714: D3F3000C 1C32357A
	buffer_load_dwordx4 a[76:79], v45, s[24:27], 0 offen offset:1024// 00000000471C: E05C1400 80864C2D
	v_mfma_f32_16x16x32_fp8_fp8 v[12:15], a[124:125], a[28:29], v[12:15]// 000000004724: D3F3000C 1C32397C
	v_mfma_f32_16x16x32_fp8_fp8 v[12:15], a[126:127], a[30:31], v[12:15]// 00000000472C: D3F3000C 1C323D7E
	v_fma_f32 v132, v8, v6, v132                               // 000000004734: D1CB0084 06120D08
	v_fma_f32 v133, v9, v6, v133                               // 00000000473C: D1CB0085 06160D09
	v_fma_f32 v134, v10, v6, v134                              // 000000004744: D1CB0086 061A0D0A
	v_fma_f32 v135, v11, v6, v135                              // 00000000474C: D1CB0087 061E0D0B
	v_mul_f32_dpp v4, v27, v35 row_newbcast:2 row_mask:0xf bank_mask:0xf// 000000004754: 0A0846FA FF01521B
	v_mfma_f32_16x16x32_fp8_fp8 v[8:11], a[128:129], a[24:25], 0// 00000000475C: D3F30008 1A023180
	v_mfma_f32_16x16x32_fp8_fp8 v[8:11], a[130:131], a[26:27], v[8:11]// 000000004764: D3F30008 1C223582
	buffer_load_dwordx4 a[80:83], v46, s[24:27], 0 offen       // 00000000476C: E05C1000 8086502E
	v_mfma_f32_16x16x32_fp8_fp8 v[8:11], a[132:133], a[28:29], v[8:11]// 000000004774: D3F30008 1C223984
	v_mfma_f32_16x16x32_fp8_fp8 v[8:11], a[134:135], a[30:31], v[8:11]// 00000000477C: D3F30008 1C223D86
	v_fma_f32 v140, v12, v6, v140                              // 000000004784: D1CB008C 06320D0C
	v_fma_f32 v141, v13, v6, v141                              // 00000000478C: D1CB008D 06360D0D
	v_fma_f32 v142, v14, v6, v142                              // 000000004794: D1CB008E 063A0D0E
	v_fma_f32 v143, v15, v6, v143                              // 00000000479C: D1CB008F 063E0D0F
	v_mfma_f32_16x16x32_fp8_fp8 v[12:15], a[136:137], a[24:25], 0// 0000000047A4: D3F3000C 1A023188
	v_mfma_f32_16x16x32_fp8_fp8 v[12:15], a[138:139], a[26:27], v[12:15]// 0000000047AC: D3F3000C 1C32358A
	buffer_load_dwordx4 a[84:87], v46, s[24:27], 0 offen offset:1024// 0000000047B4: E05C1400 8086542E
	v_mfma_f32_16x16x32_fp8_fp8 v[12:15], a[140:141], a[28:29], v[12:15]// 0000000047BC: D3F3000C 1C32398C
	v_mfma_f32_16x16x32_fp8_fp8 v[12:15], a[142:143], a[30:31], v[12:15]// 0000000047C4: D3F3000C 1C323D8E
	v_fma_f32 v148, v8, v4, v148                               // 0000000047CC: D1CB0094 06520908
	v_fma_f32 v149, v9, v4, v149                               // 0000000047D4: D1CB0095 06560909
	v_fma_f32 v150, v10, v4, v150                              // 0000000047DC: D1CB0096 065A090A
	v_fma_f32 v151, v11, v4, v151                              // 0000000047E4: D1CB0097 065E090B
	v_mul_f32_dpp v6, v27, v35 row_newbcast:3 row_mask:0xf bank_mask:0xf// 0000000047EC: 0A0C46FA FF01531B
	v_mfma_f32_16x16x32_fp8_fp8 v[8:11], a[144:145], a[24:25], 0// 0000000047F4: D3F30008 1A023190
	v_mfma_f32_16x16x32_fp8_fp8 v[8:11], a[146:147], a[26:27], v[8:11]// 0000000047FC: D3F30008 1C223592
	buffer_load_dwordx4 a[88:91], v47, s[24:27], 0 offen       // 000000004804: E05C1000 8086582F
	v_mfma_f32_16x16x32_fp8_fp8 v[8:11], a[148:149], a[28:29], v[8:11]// 00000000480C: D3F30008 1C223994
	s_add_u32 s60, 0x180, s80                                  // 000000004814: 803C50FF 00000180
	s_cmp_lt_u32 s60, s81                                      // 00000000481C: BF0A513C
	s_cselect_b32 s57, s57, 0                                  // 000000004820: 85398039
	s_cselect_b32 s3, s3, 0                                    // 000000004824: 85038003
	v_mfma_f32_16x16x32_fp8_fp8 v[8:11], a[150:151], a[30:31], v[8:11]// 000000004828: D3F30008 1C223D96
	s_add_u32 s60, 0x100, s80                                  // 000000004830: 803C50FF 00000100
	s_cmp_lt_u32 s60, s81                                      // 000000004838: BF0A513C
	s_cselect_b32 s58, s58, 0                                  // 00000000483C: 853A803A
	v_fma_f32 v156, v12, v4, v156                              // 000000004840: D1CB009C 0672090C
	v_fma_f32 v157, v13, v4, v157                              // 000000004848: D1CB009D 0676090D
	v_fma_f32 v158, v14, v4, v158                              // 000000004850: D1CB009E 067A090E
	v_fma_f32 v159, v15, v4, v159                              // 000000004858: D1CB009F 067E090F
	v_mfma_f32_16x16x32_fp8_fp8 v[12:15], a[152:153], a[24:25], 0// 000000004860: D3F3000C 1A023198
	v_mfma_f32_16x16x32_fp8_fp8 v[12:15], a[154:155], a[26:27], v[12:15]// 000000004868: D3F3000C 1C32359A
	buffer_load_dwordx4 a[92:95], v47, s[24:27], 0 offen offset:1024// 000000004870: E05C1400 80865C2F
	s_add_u32 s20, s57, s20                                    // 000000004878: 80141439
	s_addc_u32 s21, 0, s21                                     // 00000000487C: 82151580
	s_add_u32 s28, s3, s28                                     // 000000004880: 801C1C03
	s_addc_u32 s29, 0, s29                                     // 000000004884: 821D1D80
	v_mfma_f32_16x16x32_fp8_fp8 v[12:15], a[156:157], a[28:29], v[12:15]// 000000004888: D3F3000C 1C32399C
	s_add_u32 s84, s83, s84                                    // 000000004890: 80545453
	s_addc_u32 s85, 0, s85                                     // 000000004894: 82555580
	v_mfma_f32_16x16x32_fp8_fp8 v[12:15], a[158:159], a[30:31], v[12:15]// 000000004898: D3F3000C 1C323D9E
	v_fma_f32 v164, v8, v6, v164                               // 0000000048A0: D1CB00A4 06920D08
	v_fma_f32 v165, v9, v6, v165                               // 0000000048A8: D1CB00A5 06960D09
	v_fma_f32 v166, v10, v6, v166                              // 0000000048B0: D1CB00A6 069A0D0A
	v_fma_f32 v167, v11, v6, v167                              // 0000000048B8: D1CB00A7 069E0D0B
	v_fma_f32 v172, v12, v6, v172                              // 0000000048C0: D1CB00AC 06B20D0C
	v_fma_f32 v173, v13, v6, v173                              // 0000000048C8: D1CB00AD 06B60D0D
	v_fma_f32 v174, v14, v6, v174                              // 0000000048D0: D1CB00AE 06BA0D0E
	v_fma_f32 v175, v15, v6, v175                              // 0000000048D8: D1CB00AF 06BE0D0F
	s_add_u32 s24, s58, s24                                    // 0000000048E0: 8018183A
	s_addc_u32 s25, 0, s25                                     // 0000000048E4: 82191980
	s_addk_i32 s80, 0x80                                       // 0000000048E8: B7500080
	s_cmp_lt_i32 s80, s81                                      // 0000000048EC: BF045150
	s_cbranch_scc0 label_07BE                                  // 0000000048F0: BF840001
	s_branch label_0251                                        // 0000000048F4: BF82FA93

00000000000048f8 <label_07BE>:
	s_cmp_eq_u32 s88, 0                                        // 0000000048F8: BF068058
	s_cbranch_scc0 label_1063                                  // 0000000048FC: BF8408A3
	s_cmp_eq_u32 s89, 0                                        // 000000004900: BF068059
	s_cbranch_scc1 label_0A47                                  // 000000004904: BF850285
	v_mov_b32_e32 v8, v1                                       // 000000004908: 7E100301
	v_mov_b32_e32 v9, v1                                       // 00000000490C: 7E120301
	s_mov_b32 s60, s6                                          // 000000004910: BEBC0006
	s_mov_b32 s61, s6                                          // 000000004914: BEBD0006
	v_pk_mul_f32 v[4:5], v[48:49], v[48:49]                    // 000000004918: D3B14004 18026130
	v_pk_mul_f32 v[6:7], v[50:51], v[50:51]                    // 000000004920: D3B14006 18026532
	v_pk_fma_f32 v[4:5], v[4:5], s[78:79], v[8:9]              // 000000004928: D3B04004 1C209D04
	v_pk_fma_f32 v[6:7], v[6:7], s[78:79], v[8:9]              // 000000004930: D3B04006 1C209D06
	v_pk_mul_f32 v[4:5], v[4:5], v[48:49]                      // 000000004938: D3B14004 18026104
	v_pk_mul_f32 v[6:7], v[6:7], v[50:51]                      // 000000004940: D3B14006 18026506
	v_pk_mul_f32 v[4:5], v[4:5], s[60:61]                      // 000000004948: D3B14004 18007904
	v_pk_mul_f32 v[6:7], v[6:7], s[60:61]                      // 000000004950: D3B14006 18007906
	v_exp_f32_e32 v4, v4                                       // 000000004958: 7E084104
	v_exp_f32_e32 v5, v5                                       // 00000000495C: 7E0A4105
	v_exp_f32_e32 v6, v6                                       // 000000004960: 7E0C4106
	v_exp_f32_e32 v7, v7                                       // 000000004964: 7E0E4107
	v_add_f32_e64 v4, v4, 1.0                                  // 000000004968: D1010004 0001E504
	v_add_f32_e64 v5, v5, 1.0                                  // 000000004970: D1010005 0001E505
	v_add_f32_e64 v6, v6, 1.0                                  // 000000004978: D1010006 0001E506
	v_add_f32_e64 v7, v7, 1.0                                  // 000000004980: D1010007 0001E507
	v_rcp_f32_e32 v4, v4                                       // 000000004988: 7E084504
	v_rcp_f32_e32 v5, v5                                       // 00000000498C: 7E0A4505
	v_rcp_f32_e32 v6, v6                                       // 000000004990: 7E0C4506
	v_rcp_f32_e32 v7, v7                                       // 000000004994: 7E0E4507
	v_mul_f32_e32 v48, v48, v4                                 // 000000004998: 0A600930
	v_mul_f32_e32 v49, v49, v5                                 // 00000000499C: 0A620B31
	v_mul_f32_e32 v50, v50, v6                                 // 0000000049A0: 0A640D32
	v_mul_f32_e32 v51, v51, v7                                 // 0000000049A4: 0A660F33
	v_mul_f32_e32 v48, v48, v112                               // 0000000049A8: 0A60E130
	v_mul_f32_e32 v49, v49, v113                               // 0000000049AC: 0A62E331
	v_mul_f32_e32 v50, v50, v114                               // 0000000049B0: 0A64E532
	v_mul_f32_e32 v51, v51, v115                               // 0000000049B4: 0A66E733
	v_pk_mul_f32 v[4:5], v[52:53], v[52:53]                    // 0000000049B8: D3B14004 18026934
	v_pk_mul_f32 v[6:7], v[54:55], v[54:55]                    // 0000000049C0: D3B14006 18026D36
	v_pk_fma_f32 v[4:5], v[4:5], s[78:79], v[8:9]              // 0000000049C8: D3B04004 1C209D04
	v_pk_fma_f32 v[6:7], v[6:7], s[78:79], v[8:9]              // 0000000049D0: D3B04006 1C209D06
	v_pk_mul_f32 v[4:5], v[4:5], v[52:53]                      // 0000000049D8: D3B14004 18026904
	v_pk_mul_f32 v[6:7], v[6:7], v[54:55]                      // 0000000049E0: D3B14006 18026D06
	v_pk_mul_f32 v[4:5], v[4:5], s[60:61]                      // 0000000049E8: D3B14004 18007904
	v_pk_mul_f32 v[6:7], v[6:7], s[60:61]                      // 0000000049F0: D3B14006 18007906
	v_exp_f32_e32 v4, v4                                       // 0000000049F8: 7E084104
	v_exp_f32_e32 v5, v5                                       // 0000000049FC: 7E0A4105
	v_exp_f32_e32 v6, v6                                       // 000000004A00: 7E0C4106
	v_exp_f32_e32 v7, v7                                       // 000000004A04: 7E0E4107
	v_add_f32_e64 v4, v4, 1.0                                  // 000000004A08: D1010004 0001E504
	v_add_f32_e64 v5, v5, 1.0                                  // 000000004A10: D1010005 0001E505
	v_add_f32_e64 v6, v6, 1.0                                  // 000000004A18: D1010006 0001E506
	v_add_f32_e64 v7, v7, 1.0                                  // 000000004A20: D1010007 0001E507
	v_rcp_f32_e32 v4, v4                                       // 000000004A28: 7E084504
	v_rcp_f32_e32 v5, v5                                       // 000000004A2C: 7E0A4505
	v_rcp_f32_e32 v6, v6                                       // 000000004A30: 7E0C4506
	v_rcp_f32_e32 v7, v7                                       // 000000004A34: 7E0E4507
	v_mul_f32_e32 v52, v52, v4                                 // 000000004A38: 0A680934
	v_mul_f32_e32 v53, v53, v5                                 // 000000004A3C: 0A6A0B35
	v_mul_f32_e32 v54, v54, v6                                 // 000000004A40: 0A6C0D36
	v_mul_f32_e32 v55, v55, v7                                 // 000000004A44: 0A6E0F37
	v_mul_f32_e32 v52, v52, v116                               // 000000004A48: 0A68E934
	v_mul_f32_e32 v53, v53, v117                               // 000000004A4C: 0A6AEB35
	v_mul_f32_e32 v54, v54, v118                               // 000000004A50: 0A6CED36
	v_mul_f32_e32 v55, v55, v119                               // 000000004A54: 0A6EEF37
	v_pk_mul_f32 v[4:5], v[56:57], v[56:57]                    // 000000004A58: D3B14004 18027138
	v_pk_mul_f32 v[6:7], v[58:59], v[58:59]                    // 000000004A60: D3B14006 1802753A
	v_pk_fma_f32 v[4:5], v[4:5], s[78:79], v[8:9]              // 000000004A68: D3B04004 1C209D04
	v_pk_fma_f32 v[6:7], v[6:7], s[78:79], v[8:9]              // 000000004A70: D3B04006 1C209D06
	v_pk_mul_f32 v[4:5], v[4:5], v[56:57]                      // 000000004A78: D3B14004 18027104
	v_pk_mul_f32 v[6:7], v[6:7], v[58:59]                      // 000000004A80: D3B14006 18027506
	v_pk_mul_f32 v[4:5], v[4:5], s[60:61]                      // 000000004A88: D3B14004 18007904
	v_pk_mul_f32 v[6:7], v[6:7], s[60:61]                      // 000000004A90: D3B14006 18007906
	v_exp_f32_e32 v4, v4                                       // 000000004A98: 7E084104
	v_exp_f32_e32 v5, v5                                       // 000000004A9C: 7E0A4105
	v_exp_f32_e32 v6, v6                                       // 000000004AA0: 7E0C4106
	v_exp_f32_e32 v7, v7                                       // 000000004AA4: 7E0E4107
	v_add_f32_e64 v4, v4, 1.0                                  // 000000004AA8: D1010004 0001E504
	v_add_f32_e64 v5, v5, 1.0                                  // 000000004AB0: D1010005 0001E505
	v_add_f32_e64 v6, v6, 1.0                                  // 000000004AB8: D1010006 0001E506
	v_add_f32_e64 v7, v7, 1.0                                  // 000000004AC0: D1010007 0001E507
	v_rcp_f32_e32 v4, v4                                       // 000000004AC8: 7E084504
	v_rcp_f32_e32 v5, v5                                       // 000000004ACC: 7E0A4505
	v_rcp_f32_e32 v6, v6                                       // 000000004AD0: 7E0C4506
	v_rcp_f32_e32 v7, v7                                       // 000000004AD4: 7E0E4507
	v_mul_f32_e32 v56, v56, v4                                 // 000000004AD8: 0A700938
	v_mul_f32_e32 v57, v57, v5                                 // 000000004ADC: 0A720B39
	v_mul_f32_e32 v58, v58, v6                                 // 000000004AE0: 0A740D3A
	v_mul_f32_e32 v59, v59, v7                                 // 000000004AE4: 0A760F3B
	v_mul_f32_e32 v56, v56, v120                               // 000000004AE8: 0A70F138
	v_mul_f32_e32 v57, v57, v121                               // 000000004AEC: 0A72F339
	v_mul_f32_e32 v58, v58, v122                               // 000000004AF0: 0A74F53A
	v_mul_f32_e32 v59, v59, v123                               // 000000004AF4: 0A76F73B
	v_pk_mul_f32 v[4:5], v[60:61], v[60:61]                    // 000000004AF8: D3B14004 1802793C
	v_pk_mul_f32 v[6:7], v[62:63], v[62:63]                    // 000000004B00: D3B14006 18027D3E
	v_pk_fma_f32 v[4:5], v[4:5], s[78:79], v[8:9]              // 000000004B08: D3B04004 1C209D04
	v_pk_fma_f32 v[6:7], v[6:7], s[78:79], v[8:9]              // 000000004B10: D3B04006 1C209D06
	v_pk_mul_f32 v[4:5], v[4:5], v[60:61]                      // 000000004B18: D3B14004 18027904
	v_pk_mul_f32 v[6:7], v[6:7], v[62:63]                      // 000000004B20: D3B14006 18027D06
	v_pk_mul_f32 v[4:5], v[4:5], s[60:61]                      // 000000004B28: D3B14004 18007904
	v_pk_mul_f32 v[6:7], v[6:7], s[60:61]                      // 000000004B30: D3B14006 18007906
	v_exp_f32_e32 v4, v4                                       // 000000004B38: 7E084104
	v_exp_f32_e32 v5, v5                                       // 000000004B3C: 7E0A4105
	v_exp_f32_e32 v6, v6                                       // 000000004B40: 7E0C4106
	v_exp_f32_e32 v7, v7                                       // 000000004B44: 7E0E4107
	v_add_f32_e64 v4, v4, 1.0                                  // 000000004B48: D1010004 0001E504
	v_add_f32_e64 v5, v5, 1.0                                  // 000000004B50: D1010005 0001E505
	v_add_f32_e64 v6, v6, 1.0                                  // 000000004B58: D1010006 0001E506
	v_add_f32_e64 v7, v7, 1.0                                  // 000000004B60: D1010007 0001E507
	v_rcp_f32_e32 v4, v4                                       // 000000004B68: 7E084504
	v_rcp_f32_e32 v5, v5                                       // 000000004B6C: 7E0A4505
	v_rcp_f32_e32 v6, v6                                       // 000000004B70: 7E0C4506
	v_rcp_f32_e32 v7, v7                                       // 000000004B74: 7E0E4507
	v_mul_f32_e32 v60, v60, v4                                 // 000000004B78: 0A78093C
	v_mul_f32_e32 v61, v61, v5                                 // 000000004B7C: 0A7A0B3D
	v_mul_f32_e32 v62, v62, v6                                 // 000000004B80: 0A7C0D3E
	v_mul_f32_e32 v63, v63, v7                                 // 000000004B84: 0A7E0F3F
	v_mul_f32_e32 v60, v60, v124                               // 000000004B88: 0A78F93C
	v_mul_f32_e32 v61, v61, v125                               // 000000004B8C: 0A7AFB3D
	v_mul_f32_e32 v62, v62, v126                               // 000000004B90: 0A7CFD3E
	v_mul_f32_e32 v63, v63, v127                               // 000000004B94: 0A7EFF3F
	v_pk_mul_f32 v[4:5], v[64:65], v[64:65]                    // 000000004B98: D3B14004 18028140
	v_pk_mul_f32 v[6:7], v[66:67], v[66:67]                    // 000000004BA0: D3B14006 18028542
	v_pk_fma_f32 v[4:5], v[4:5], s[78:79], v[8:9]              // 000000004BA8: D3B04004 1C209D04
	v_pk_fma_f32 v[6:7], v[6:7], s[78:79], v[8:9]              // 000000004BB0: D3B04006 1C209D06
	v_pk_mul_f32 v[4:5], v[4:5], v[64:65]                      // 000000004BB8: D3B14004 18028104
	v_pk_mul_f32 v[6:7], v[6:7], v[66:67]                      // 000000004BC0: D3B14006 18028506
	v_pk_mul_f32 v[4:5], v[4:5], s[60:61]                      // 000000004BC8: D3B14004 18007904
	v_pk_mul_f32 v[6:7], v[6:7], s[60:61]                      // 000000004BD0: D3B14006 18007906
	v_exp_f32_e32 v4, v4                                       // 000000004BD8: 7E084104
	v_exp_f32_e32 v5, v5                                       // 000000004BDC: 7E0A4105
	v_exp_f32_e32 v6, v6                                       // 000000004BE0: 7E0C4106
	v_exp_f32_e32 v7, v7                                       // 000000004BE4: 7E0E4107
	v_add_f32_e64 v4, v4, 1.0                                  // 000000004BE8: D1010004 0001E504
	v_add_f32_e64 v5, v5, 1.0                                  // 000000004BF0: D1010005 0001E505
	v_add_f32_e64 v6, v6, 1.0                                  // 000000004BF8: D1010006 0001E506
	v_add_f32_e64 v7, v7, 1.0                                  // 000000004C00: D1010007 0001E507
	v_rcp_f32_e32 v4, v4                                       // 000000004C08: 7E084504
	v_rcp_f32_e32 v5, v5                                       // 000000004C0C: 7E0A4505
	v_rcp_f32_e32 v6, v6                                       // 000000004C10: 7E0C4506
	v_rcp_f32_e32 v7, v7                                       // 000000004C14: 7E0E4507
	v_mul_f32_e32 v64, v64, v4                                 // 000000004C18: 0A800940
	v_mul_f32_e32 v65, v65, v5                                 // 000000004C1C: 0A820B41
	v_mul_f32_e32 v66, v66, v6                                 // 000000004C20: 0A840D42
	v_mul_f32_e32 v67, v67, v7                                 // 000000004C24: 0A860F43
	v_mul_f32_e32 v64, v64, v128                               // 000000004C28: 0A810140
	v_mul_f32_e32 v65, v65, v129                               // 000000004C2C: 0A830341
	v_mul_f32_e32 v66, v66, v130                               // 000000004C30: 0A850542
	v_mul_f32_e32 v67, v67, v131                               // 000000004C34: 0A870743
	v_pk_mul_f32 v[4:5], v[68:69], v[68:69]                    // 000000004C38: D3B14004 18028944
	v_pk_mul_f32 v[6:7], v[70:71], v[70:71]                    // 000000004C40: D3B14006 18028D46
	v_pk_fma_f32 v[4:5], v[4:5], s[78:79], v[8:9]              // 000000004C48: D3B04004 1C209D04
	v_pk_fma_f32 v[6:7], v[6:7], s[78:79], v[8:9]              // 000000004C50: D3B04006 1C209D06
	v_pk_mul_f32 v[4:5], v[4:5], v[68:69]                      // 000000004C58: D3B14004 18028904
	v_pk_mul_f32 v[6:7], v[6:7], v[70:71]                      // 000000004C60: D3B14006 18028D06
	v_pk_mul_f32 v[4:5], v[4:5], s[60:61]                      // 000000004C68: D3B14004 18007904
	v_pk_mul_f32 v[6:7], v[6:7], s[60:61]                      // 000000004C70: D3B14006 18007906
	v_exp_f32_e32 v4, v4                                       // 000000004C78: 7E084104
	v_exp_f32_e32 v5, v5                                       // 000000004C7C: 7E0A4105
	v_exp_f32_e32 v6, v6                                       // 000000004C80: 7E0C4106
	v_exp_f32_e32 v7, v7                                       // 000000004C84: 7E0E4107
	v_add_f32_e64 v4, v4, 1.0                                  // 000000004C88: D1010004 0001E504
	v_add_f32_e64 v5, v5, 1.0                                  // 000000004C90: D1010005 0001E505
	v_add_f32_e64 v6, v6, 1.0                                  // 000000004C98: D1010006 0001E506
	v_add_f32_e64 v7, v7, 1.0                                  // 000000004CA0: D1010007 0001E507
	v_rcp_f32_e32 v4, v4                                       // 000000004CA8: 7E084504
	v_rcp_f32_e32 v5, v5                                       // 000000004CAC: 7E0A4505
	v_rcp_f32_e32 v6, v6                                       // 000000004CB0: 7E0C4506
	v_rcp_f32_e32 v7, v7                                       // 000000004CB4: 7E0E4507
	v_mul_f32_e32 v68, v68, v4                                 // 000000004CB8: 0A880944
	v_mul_f32_e32 v69, v69, v5                                 // 000000004CBC: 0A8A0B45
	v_mul_f32_e32 v70, v70, v6                                 // 000000004CC0: 0A8C0D46
	v_mul_f32_e32 v71, v71, v7                                 // 000000004CC4: 0A8E0F47
	v_mul_f32_e32 v68, v68, v132                               // 000000004CC8: 0A890944
	v_mul_f32_e32 v69, v69, v133                               // 000000004CCC: 0A8B0B45
	v_mul_f32_e32 v70, v70, v134                               // 000000004CD0: 0A8D0D46
	v_mul_f32_e32 v71, v71, v135                               // 000000004CD4: 0A8F0F47
	v_pk_mul_f32 v[4:5], v[72:73], v[72:73]                    // 000000004CD8: D3B14004 18029148
	v_pk_mul_f32 v[6:7], v[74:75], v[74:75]                    // 000000004CE0: D3B14006 1802954A
	v_pk_fma_f32 v[4:5], v[4:5], s[78:79], v[8:9]              // 000000004CE8: D3B04004 1C209D04
	v_pk_fma_f32 v[6:7], v[6:7], s[78:79], v[8:9]              // 000000004CF0: D3B04006 1C209D06
	v_pk_mul_f32 v[4:5], v[4:5], v[72:73]                      // 000000004CF8: D3B14004 18029104
	v_pk_mul_f32 v[6:7], v[6:7], v[74:75]                      // 000000004D00: D3B14006 18029506
	v_pk_mul_f32 v[4:5], v[4:5], s[60:61]                      // 000000004D08: D3B14004 18007904
	v_pk_mul_f32 v[6:7], v[6:7], s[60:61]                      // 000000004D10: D3B14006 18007906
	v_exp_f32_e32 v4, v4                                       // 000000004D18: 7E084104
	v_exp_f32_e32 v5, v5                                       // 000000004D1C: 7E0A4105
	v_exp_f32_e32 v6, v6                                       // 000000004D20: 7E0C4106
	v_exp_f32_e32 v7, v7                                       // 000000004D24: 7E0E4107
	v_add_f32_e64 v4, v4, 1.0                                  // 000000004D28: D1010004 0001E504
	v_add_f32_e64 v5, v5, 1.0                                  // 000000004D30: D1010005 0001E505
	v_add_f32_e64 v6, v6, 1.0                                  // 000000004D38: D1010006 0001E506
	v_add_f32_e64 v7, v7, 1.0                                  // 000000004D40: D1010007 0001E507
	v_rcp_f32_e32 v4, v4                                       // 000000004D48: 7E084504
	v_rcp_f32_e32 v5, v5                                       // 000000004D4C: 7E0A4505
	v_rcp_f32_e32 v6, v6                                       // 000000004D50: 7E0C4506
	v_rcp_f32_e32 v7, v7                                       // 000000004D54: 7E0E4507
	v_mul_f32_e32 v72, v72, v4                                 // 000000004D58: 0A900948
	v_mul_f32_e32 v73, v73, v5                                 // 000000004D5C: 0A920B49
	v_mul_f32_e32 v74, v74, v6                                 // 000000004D60: 0A940D4A
	v_mul_f32_e32 v75, v75, v7                                 // 000000004D64: 0A960F4B
	v_mul_f32_e32 v72, v72, v136                               // 000000004D68: 0A911148
	v_mul_f32_e32 v73, v73, v137                               // 000000004D6C: 0A931349
	v_mul_f32_e32 v74, v74, v138                               // 000000004D70: 0A95154A
	v_mul_f32_e32 v75, v75, v139                               // 000000004D74: 0A97174B
	v_pk_mul_f32 v[4:5], v[76:77], v[76:77]                    // 000000004D78: D3B14004 1802994C
	v_pk_mul_f32 v[6:7], v[78:79], v[78:79]                    // 000000004D80: D3B14006 18029D4E
	v_pk_fma_f32 v[4:5], v[4:5], s[78:79], v[8:9]              // 000000004D88: D3B04004 1C209D04
	v_pk_fma_f32 v[6:7], v[6:7], s[78:79], v[8:9]              // 000000004D90: D3B04006 1C209D06
	v_pk_mul_f32 v[4:5], v[4:5], v[76:77]                      // 000000004D98: D3B14004 18029904
	v_pk_mul_f32 v[6:7], v[6:7], v[78:79]                      // 000000004DA0: D3B14006 18029D06
	v_pk_mul_f32 v[4:5], v[4:5], s[60:61]                      // 000000004DA8: D3B14004 18007904
	v_pk_mul_f32 v[6:7], v[6:7], s[60:61]                      // 000000004DB0: D3B14006 18007906
	v_exp_f32_e32 v4, v4                                       // 000000004DB8: 7E084104
	v_exp_f32_e32 v5, v5                                       // 000000004DBC: 7E0A4105
	v_exp_f32_e32 v6, v6                                       // 000000004DC0: 7E0C4106
	v_exp_f32_e32 v7, v7                                       // 000000004DC4: 7E0E4107
	v_add_f32_e64 v4, v4, 1.0                                  // 000000004DC8: D1010004 0001E504
	v_add_f32_e64 v5, v5, 1.0                                  // 000000004DD0: D1010005 0001E505
	v_add_f32_e64 v6, v6, 1.0                                  // 000000004DD8: D1010006 0001E506
	v_add_f32_e64 v7, v7, 1.0                                  // 000000004DE0: D1010007 0001E507
	v_rcp_f32_e32 v4, v4                                       // 000000004DE8: 7E084504
	v_rcp_f32_e32 v5, v5                                       // 000000004DEC: 7E0A4505
	v_rcp_f32_e32 v6, v6                                       // 000000004DF0: 7E0C4506
	v_rcp_f32_e32 v7, v7                                       // 000000004DF4: 7E0E4507
	v_mul_f32_e32 v76, v76, v4                                 // 000000004DF8: 0A98094C
	v_mul_f32_e32 v77, v77, v5                                 // 000000004DFC: 0A9A0B4D
	v_mul_f32_e32 v78, v78, v6                                 // 000000004E00: 0A9C0D4E
	v_mul_f32_e32 v79, v79, v7                                 // 000000004E04: 0A9E0F4F
	v_mul_f32_e32 v76, v76, v140                               // 000000004E08: 0A99194C
	v_mul_f32_e32 v77, v77, v141                               // 000000004E0C: 0A9B1B4D
	v_mul_f32_e32 v78, v78, v142                               // 000000004E10: 0A9D1D4E
	v_mul_f32_e32 v79, v79, v143                               // 000000004E14: 0A9F1F4F
	v_pk_mul_f32 v[4:5], v[80:81], v[80:81]                    // 000000004E18: D3B14004 1802A150
	v_pk_mul_f32 v[6:7], v[82:83], v[82:83]                    // 000000004E20: D3B14006 1802A552
	v_pk_fma_f32 v[4:5], v[4:5], s[78:79], v[8:9]              // 000000004E28: D3B04004 1C209D04
	v_pk_fma_f32 v[6:7], v[6:7], s[78:79], v[8:9]              // 000000004E30: D3B04006 1C209D06
	v_pk_mul_f32 v[4:5], v[4:5], v[80:81]                      // 000000004E38: D3B14004 1802A104
	v_pk_mul_f32 v[6:7], v[6:7], v[82:83]                      // 000000004E40: D3B14006 1802A506
	v_pk_mul_f32 v[4:5], v[4:5], s[60:61]                      // 000000004E48: D3B14004 18007904
	v_pk_mul_f32 v[6:7], v[6:7], s[60:61]                      // 000000004E50: D3B14006 18007906
	v_exp_f32_e32 v4, v4                                       // 000000004E58: 7E084104
	v_exp_f32_e32 v5, v5                                       // 000000004E5C: 7E0A4105
	v_exp_f32_e32 v6, v6                                       // 000000004E60: 7E0C4106
	v_exp_f32_e32 v7, v7                                       // 000000004E64: 7E0E4107
	v_add_f32_e64 v4, v4, 1.0                                  // 000000004E68: D1010004 0001E504
	v_add_f32_e64 v5, v5, 1.0                                  // 000000004E70: D1010005 0001E505
	v_add_f32_e64 v6, v6, 1.0                                  // 000000004E78: D1010006 0001E506
	v_add_f32_e64 v7, v7, 1.0                                  // 000000004E80: D1010007 0001E507
	v_rcp_f32_e32 v4, v4                                       // 000000004E88: 7E084504
	v_rcp_f32_e32 v5, v5                                       // 000000004E8C: 7E0A4505
	v_rcp_f32_e32 v6, v6                                       // 000000004E90: 7E0C4506
	v_rcp_f32_e32 v7, v7                                       // 000000004E94: 7E0E4507
	v_mul_f32_e32 v80, v80, v4                                 // 000000004E98: 0AA00950
	v_mul_f32_e32 v81, v81, v5                                 // 000000004E9C: 0AA20B51
	v_mul_f32_e32 v82, v82, v6                                 // 000000004EA0: 0AA40D52
	v_mul_f32_e32 v83, v83, v7                                 // 000000004EA4: 0AA60F53
	v_mul_f32_e32 v80, v80, v144                               // 000000004EA8: 0AA12150
	v_mul_f32_e32 v81, v81, v145                               // 000000004EAC: 0AA32351
	v_mul_f32_e32 v82, v82, v146                               // 000000004EB0: 0AA52552
	v_mul_f32_e32 v83, v83, v147                               // 000000004EB4: 0AA72753
	v_pk_mul_f32 v[4:5], v[84:85], v[84:85]                    // 000000004EB8: D3B14004 1802A954
	v_pk_mul_f32 v[6:7], v[86:87], v[86:87]                    // 000000004EC0: D3B14006 1802AD56
	v_pk_fma_f32 v[4:5], v[4:5], s[78:79], v[8:9]              // 000000004EC8: D3B04004 1C209D04
	v_pk_fma_f32 v[6:7], v[6:7], s[78:79], v[8:9]              // 000000004ED0: D3B04006 1C209D06
	v_pk_mul_f32 v[4:5], v[4:5], v[84:85]                      // 000000004ED8: D3B14004 1802A904
	v_pk_mul_f32 v[6:7], v[6:7], v[86:87]                      // 000000004EE0: D3B14006 1802AD06
	v_pk_mul_f32 v[4:5], v[4:5], s[60:61]                      // 000000004EE8: D3B14004 18007904
	v_pk_mul_f32 v[6:7], v[6:7], s[60:61]                      // 000000004EF0: D3B14006 18007906
	v_exp_f32_e32 v4, v4                                       // 000000004EF8: 7E084104
	v_exp_f32_e32 v5, v5                                       // 000000004EFC: 7E0A4105
	v_exp_f32_e32 v6, v6                                       // 000000004F00: 7E0C4106
	v_exp_f32_e32 v7, v7                                       // 000000004F04: 7E0E4107
	v_add_f32_e64 v4, v4, 1.0                                  // 000000004F08: D1010004 0001E504
	v_add_f32_e64 v5, v5, 1.0                                  // 000000004F10: D1010005 0001E505
	v_add_f32_e64 v6, v6, 1.0                                  // 000000004F18: D1010006 0001E506
	v_add_f32_e64 v7, v7, 1.0                                  // 000000004F20: D1010007 0001E507
	v_rcp_f32_e32 v4, v4                                       // 000000004F28: 7E084504
	v_rcp_f32_e32 v5, v5                                       // 000000004F2C: 7E0A4505
	v_rcp_f32_e32 v6, v6                                       // 000000004F30: 7E0C4506
	v_rcp_f32_e32 v7, v7                                       // 000000004F34: 7E0E4507
	v_mul_f32_e32 v84, v84, v4                                 // 000000004F38: 0AA80954
	v_mul_f32_e32 v85, v85, v5                                 // 000000004F3C: 0AAA0B55
	v_mul_f32_e32 v86, v86, v6                                 // 000000004F40: 0AAC0D56
	v_mul_f32_e32 v87, v87, v7                                 // 000000004F44: 0AAE0F57
	v_mul_f32_e32 v84, v84, v148                               // 000000004F48: 0AA92954
	v_mul_f32_e32 v85, v85, v149                               // 000000004F4C: 0AAB2B55
	v_mul_f32_e32 v86, v86, v150                               // 000000004F50: 0AAD2D56
	v_mul_f32_e32 v87, v87, v151                               // 000000004F54: 0AAF2F57
	v_pk_mul_f32 v[4:5], v[88:89], v[88:89]                    // 000000004F58: D3B14004 1802B158
	v_pk_mul_f32 v[6:7], v[90:91], v[90:91]                    // 000000004F60: D3B14006 1802B55A
	v_pk_fma_f32 v[4:5], v[4:5], s[78:79], v[8:9]              // 000000004F68: D3B04004 1C209D04
	v_pk_fma_f32 v[6:7], v[6:7], s[78:79], v[8:9]              // 000000004F70: D3B04006 1C209D06
	v_pk_mul_f32 v[4:5], v[4:5], v[88:89]                      // 000000004F78: D3B14004 1802B104
	v_pk_mul_f32 v[6:7], v[6:7], v[90:91]                      // 000000004F80: D3B14006 1802B506
	v_pk_mul_f32 v[4:5], v[4:5], s[60:61]                      // 000000004F88: D3B14004 18007904
	v_pk_mul_f32 v[6:7], v[6:7], s[60:61]                      // 000000004F90: D3B14006 18007906
	v_exp_f32_e32 v4, v4                                       // 000000004F98: 7E084104
	v_exp_f32_e32 v5, v5                                       // 000000004F9C: 7E0A4105
	v_exp_f32_e32 v6, v6                                       // 000000004FA0: 7E0C4106
	v_exp_f32_e32 v7, v7                                       // 000000004FA4: 7E0E4107
	v_add_f32_e64 v4, v4, 1.0                                  // 000000004FA8: D1010004 0001E504
	v_add_f32_e64 v5, v5, 1.0                                  // 000000004FB0: D1010005 0001E505
	v_add_f32_e64 v6, v6, 1.0                                  // 000000004FB8: D1010006 0001E506
	v_add_f32_e64 v7, v7, 1.0                                  // 000000004FC0: D1010007 0001E507
	v_rcp_f32_e32 v4, v4                                       // 000000004FC8: 7E084504
	v_rcp_f32_e32 v5, v5                                       // 000000004FCC: 7E0A4505
	v_rcp_f32_e32 v6, v6                                       // 000000004FD0: 7E0C4506
	v_rcp_f32_e32 v7, v7                                       // 000000004FD4: 7E0E4507
	v_mul_f32_e32 v88, v88, v4                                 // 000000004FD8: 0AB00958
	v_mul_f32_e32 v89, v89, v5                                 // 000000004FDC: 0AB20B59
	v_mul_f32_e32 v90, v90, v6                                 // 000000004FE0: 0AB40D5A
	v_mul_f32_e32 v91, v91, v7                                 // 000000004FE4: 0AB60F5B
	v_mul_f32_e32 v88, v88, v152                               // 000000004FE8: 0AB13158
	v_mul_f32_e32 v89, v89, v153                               // 000000004FEC: 0AB33359
	v_mul_f32_e32 v90, v90, v154                               // 000000004FF0: 0AB5355A
	v_mul_f32_e32 v91, v91, v155                               // 000000004FF4: 0AB7375B
	v_pk_mul_f32 v[4:5], v[92:93], v[92:93]                    // 000000004FF8: D3B14004 1802B95C
	v_pk_mul_f32 v[6:7], v[94:95], v[94:95]                    // 000000005000: D3B14006 1802BD5E
	v_pk_fma_f32 v[4:5], v[4:5], s[78:79], v[8:9]              // 000000005008: D3B04004 1C209D04
	v_pk_fma_f32 v[6:7], v[6:7], s[78:79], v[8:9]              // 000000005010: D3B04006 1C209D06
	v_pk_mul_f32 v[4:5], v[4:5], v[92:93]                      // 000000005018: D3B14004 1802B904
	v_pk_mul_f32 v[6:7], v[6:7], v[94:95]                      // 000000005020: D3B14006 1802BD06
	v_pk_mul_f32 v[4:5], v[4:5], s[60:61]                      // 000000005028: D3B14004 18007904
	v_pk_mul_f32 v[6:7], v[6:7], s[60:61]                      // 000000005030: D3B14006 18007906
	v_exp_f32_e32 v4, v4                                       // 000000005038: 7E084104
	v_exp_f32_e32 v5, v5                                       // 00000000503C: 7E0A4105
	v_exp_f32_e32 v6, v6                                       // 000000005040: 7E0C4106
	v_exp_f32_e32 v7, v7                                       // 000000005044: 7E0E4107
	v_add_f32_e64 v4, v4, 1.0                                  // 000000005048: D1010004 0001E504
	v_add_f32_e64 v5, v5, 1.0                                  // 000000005050: D1010005 0001E505
	v_add_f32_e64 v6, v6, 1.0                                  // 000000005058: D1010006 0001E506
	v_add_f32_e64 v7, v7, 1.0                                  // 000000005060: D1010007 0001E507
	v_rcp_f32_e32 v4, v4                                       // 000000005068: 7E084504
	v_rcp_f32_e32 v5, v5                                       // 00000000506C: 7E0A4505
	v_rcp_f32_e32 v6, v6                                       // 000000005070: 7E0C4506
	v_rcp_f32_e32 v7, v7                                       // 000000005074: 7E0E4507
	v_mul_f32_e32 v92, v92, v4                                 // 000000005078: 0AB8095C
	v_mul_f32_e32 v93, v93, v5                                 // 00000000507C: 0ABA0B5D
	v_mul_f32_e32 v94, v94, v6                                 // 000000005080: 0ABC0D5E
	v_mul_f32_e32 v95, v95, v7                                 // 000000005084: 0ABE0F5F
	v_mul_f32_e32 v92, v92, v156                               // 000000005088: 0AB9395C
	v_mul_f32_e32 v93, v93, v157                               // 00000000508C: 0ABB3B5D
	v_mul_f32_e32 v94, v94, v158                               // 000000005090: 0ABD3D5E
	v_mul_f32_e32 v95, v95, v159                               // 000000005094: 0ABF3F5F
	v_pk_mul_f32 v[4:5], v[96:97], v[96:97]                    // 000000005098: D3B14004 1802C160
	v_pk_mul_f32 v[6:7], v[98:99], v[98:99]                    // 0000000050A0: D3B14006 1802C562
	v_pk_fma_f32 v[4:5], v[4:5], s[78:79], v[8:9]              // 0000000050A8: D3B04004 1C209D04
	v_pk_fma_f32 v[6:7], v[6:7], s[78:79], v[8:9]              // 0000000050B0: D3B04006 1C209D06
	v_pk_mul_f32 v[4:5], v[4:5], v[96:97]                      // 0000000050B8: D3B14004 1802C104
	v_pk_mul_f32 v[6:7], v[6:7], v[98:99]                      // 0000000050C0: D3B14006 1802C506
	v_pk_mul_f32 v[4:5], v[4:5], s[60:61]                      // 0000000050C8: D3B14004 18007904
	v_pk_mul_f32 v[6:7], v[6:7], s[60:61]                      // 0000000050D0: D3B14006 18007906
	v_exp_f32_e32 v4, v4                                       // 0000000050D8: 7E084104
	v_exp_f32_e32 v5, v5                                       // 0000000050DC: 7E0A4105
	v_exp_f32_e32 v6, v6                                       // 0000000050E0: 7E0C4106
	v_exp_f32_e32 v7, v7                                       // 0000000050E4: 7E0E4107
	v_add_f32_e64 v4, v4, 1.0                                  // 0000000050E8: D1010004 0001E504
	v_add_f32_e64 v5, v5, 1.0                                  // 0000000050F0: D1010005 0001E505
	v_add_f32_e64 v6, v6, 1.0                                  // 0000000050F8: D1010006 0001E506
	v_add_f32_e64 v7, v7, 1.0                                  // 000000005100: D1010007 0001E507
	v_rcp_f32_e32 v4, v4                                       // 000000005108: 7E084504
	v_rcp_f32_e32 v5, v5                                       // 00000000510C: 7E0A4505
	v_rcp_f32_e32 v6, v6                                       // 000000005110: 7E0C4506
	v_rcp_f32_e32 v7, v7                                       // 000000005114: 7E0E4507
	v_mul_f32_e32 v96, v96, v4                                 // 000000005118: 0AC00960
	v_mul_f32_e32 v97, v97, v5                                 // 00000000511C: 0AC20B61
	v_mul_f32_e32 v98, v98, v6                                 // 000000005120: 0AC40D62
	v_mul_f32_e32 v99, v99, v7                                 // 000000005124: 0AC60F63
	v_mul_f32_e32 v96, v96, v160                               // 000000005128: 0AC14160
	v_mul_f32_e32 v97, v97, v161                               // 00000000512C: 0AC34361
	v_mul_f32_e32 v98, v98, v162                               // 000000005130: 0AC54562
	v_mul_f32_e32 v99, v99, v163                               // 000000005134: 0AC74763
	v_pk_mul_f32 v[4:5], v[100:101], v[100:101]                // 000000005138: D3B14004 1802C964
	v_pk_mul_f32 v[6:7], v[102:103], v[102:103]                // 000000005140: D3B14006 1802CD66
	v_pk_fma_f32 v[4:5], v[4:5], s[78:79], v[8:9]              // 000000005148: D3B04004 1C209D04
	v_pk_fma_f32 v[6:7], v[6:7], s[78:79], v[8:9]              // 000000005150: D3B04006 1C209D06
	v_pk_mul_f32 v[4:5], v[4:5], v[100:101]                    // 000000005158: D3B14004 1802C904
	v_pk_mul_f32 v[6:7], v[6:7], v[102:103]                    // 000000005160: D3B14006 1802CD06
	v_pk_mul_f32 v[4:5], v[4:5], s[60:61]                      // 000000005168: D3B14004 18007904
	v_pk_mul_f32 v[6:7], v[6:7], s[60:61]                      // 000000005170: D3B14006 18007906
	v_exp_f32_e32 v4, v4                                       // 000000005178: 7E084104
	v_exp_f32_e32 v5, v5                                       // 00000000517C: 7E0A4105
	v_exp_f32_e32 v6, v6                                       // 000000005180: 7E0C4106
	v_exp_f32_e32 v7, v7                                       // 000000005184: 7E0E4107
	v_add_f32_e64 v4, v4, 1.0                                  // 000000005188: D1010004 0001E504
	v_add_f32_e64 v5, v5, 1.0                                  // 000000005190: D1010005 0001E505
	v_add_f32_e64 v6, v6, 1.0                                  // 000000005198: D1010006 0001E506
	v_add_f32_e64 v7, v7, 1.0                                  // 0000000051A0: D1010007 0001E507
	v_rcp_f32_e32 v4, v4                                       // 0000000051A8: 7E084504
	v_rcp_f32_e32 v5, v5                                       // 0000000051AC: 7E0A4505
	v_rcp_f32_e32 v6, v6                                       // 0000000051B0: 7E0C4506
	v_rcp_f32_e32 v7, v7                                       // 0000000051B4: 7E0E4507
	v_mul_f32_e32 v100, v100, v4                               // 0000000051B8: 0AC80964
	v_mul_f32_e32 v101, v101, v5                               // 0000000051BC: 0ACA0B65
	v_mul_f32_e32 v102, v102, v6                               // 0000000051C0: 0ACC0D66
	v_mul_f32_e32 v103, v103, v7                               // 0000000051C4: 0ACE0F67
	v_mul_f32_e32 v100, v100, v164                             // 0000000051C8: 0AC94964
	v_mul_f32_e32 v101, v101, v165                             // 0000000051CC: 0ACB4B65
	v_mul_f32_e32 v102, v102, v166                             // 0000000051D0: 0ACD4D66
	v_mul_f32_e32 v103, v103, v167                             // 0000000051D4: 0ACF4F67
	v_pk_mul_f32 v[4:5], v[104:105], v[104:105]                // 0000000051D8: D3B14004 1802D168
	v_pk_mul_f32 v[6:7], v[106:107], v[106:107]                // 0000000051E0: D3B14006 1802D56A
	v_pk_fma_f32 v[4:5], v[4:5], s[78:79], v[8:9]              // 0000000051E8: D3B04004 1C209D04
	v_pk_fma_f32 v[6:7], v[6:7], s[78:79], v[8:9]              // 0000000051F0: D3B04006 1C209D06
	v_pk_mul_f32 v[4:5], v[4:5], v[104:105]                    // 0000000051F8: D3B14004 1802D104
	v_pk_mul_f32 v[6:7], v[6:7], v[106:107]                    // 000000005200: D3B14006 1802D506
	v_pk_mul_f32 v[4:5], v[4:5], s[60:61]                      // 000000005208: D3B14004 18007904
	v_pk_mul_f32 v[6:7], v[6:7], s[60:61]                      // 000000005210: D3B14006 18007906
	v_exp_f32_e32 v4, v4                                       // 000000005218: 7E084104
	v_exp_f32_e32 v5, v5                                       // 00000000521C: 7E0A4105
	v_exp_f32_e32 v6, v6                                       // 000000005220: 7E0C4106
	v_exp_f32_e32 v7, v7                                       // 000000005224: 7E0E4107
	v_add_f32_e64 v4, v4, 1.0                                  // 000000005228: D1010004 0001E504
	v_add_f32_e64 v5, v5, 1.0                                  // 000000005230: D1010005 0001E505
	v_add_f32_e64 v6, v6, 1.0                                  // 000000005238: D1010006 0001E506
	v_add_f32_e64 v7, v7, 1.0                                  // 000000005240: D1010007 0001E507
	v_rcp_f32_e32 v4, v4                                       // 000000005248: 7E084504
	v_rcp_f32_e32 v5, v5                                       // 00000000524C: 7E0A4505
	v_rcp_f32_e32 v6, v6                                       // 000000005250: 7E0C4506
	v_rcp_f32_e32 v7, v7                                       // 000000005254: 7E0E4507
	v_mul_f32_e32 v104, v104, v4                               // 000000005258: 0AD00968
	v_mul_f32_e32 v105, v105, v5                               // 00000000525C: 0AD20B69
	v_mul_f32_e32 v106, v106, v6                               // 000000005260: 0AD40D6A
	v_mul_f32_e32 v107, v107, v7                               // 000000005264: 0AD60F6B
	v_mul_f32_e32 v104, v104, v168                             // 000000005268: 0AD15168
	v_mul_f32_e32 v105, v105, v169                             // 00000000526C: 0AD35369
	v_mul_f32_e32 v106, v106, v170                             // 000000005270: 0AD5556A
	v_mul_f32_e32 v107, v107, v171                             // 000000005274: 0AD7576B
	v_pk_mul_f32 v[4:5], v[108:109], v[108:109]                // 000000005278: D3B14004 1802D96C
	v_pk_mul_f32 v[6:7], v[110:111], v[110:111]                // 000000005280: D3B14006 1802DD6E
	v_pk_fma_f32 v[4:5], v[4:5], s[78:79], v[8:9]              // 000000005288: D3B04004 1C209D04
	v_pk_fma_f32 v[6:7], v[6:7], s[78:79], v[8:9]              // 000000005290: D3B04006 1C209D06
	v_pk_mul_f32 v[4:5], v[4:5], v[108:109]                    // 000000005298: D3B14004 1802D904
	v_pk_mul_f32 v[6:7], v[6:7], v[110:111]                    // 0000000052A0: D3B14006 1802DD06
	v_pk_mul_f32 v[4:5], v[4:5], s[60:61]                      // 0000000052A8: D3B14004 18007904
	v_pk_mul_f32 v[6:7], v[6:7], s[60:61]                      // 0000000052B0: D3B14006 18007906
	v_exp_f32_e32 v4, v4                                       // 0000000052B8: 7E084104
	v_exp_f32_e32 v5, v5                                       // 0000000052BC: 7E0A4105
	v_exp_f32_e32 v6, v6                                       // 0000000052C0: 7E0C4106
	v_exp_f32_e32 v7, v7                                       // 0000000052C4: 7E0E4107
	v_add_f32_e64 v4, v4, 1.0                                  // 0000000052C8: D1010004 0001E504
	v_add_f32_e64 v5, v5, 1.0                                  // 0000000052D0: D1010005 0001E505
	v_add_f32_e64 v6, v6, 1.0                                  // 0000000052D8: D1010006 0001E506
	v_add_f32_e64 v7, v7, 1.0                                  // 0000000052E0: D1010007 0001E507
	v_rcp_f32_e32 v4, v4                                       // 0000000052E8: 7E084504
	v_rcp_f32_e32 v5, v5                                       // 0000000052EC: 7E0A4505
	v_rcp_f32_e32 v6, v6                                       // 0000000052F0: 7E0C4506
	v_rcp_f32_e32 v7, v7                                       // 0000000052F4: 7E0E4507
	v_mul_f32_e32 v108, v108, v4                               // 0000000052F8: 0AD8096C
	v_mul_f32_e32 v109, v109, v5                               // 0000000052FC: 0ADA0B6D
	v_mul_f32_e32 v110, v110, v6                               // 000000005300: 0ADC0D6E
	v_mul_f32_e32 v111, v111, v7                               // 000000005304: 0ADE0F6F
	v_mul_f32_e32 v108, v108, v172                             // 000000005308: 0AD9596C
	v_mul_f32_e32 v109, v109, v173                             // 00000000530C: 0ADB5B6D
	v_mul_f32_e32 v110, v110, v174                             // 000000005310: 0ADD5D6E
	v_mul_f32_e32 v111, v111, v175                             // 000000005314: 0ADF5F6F
	s_branch label_0C47                                        // 000000005318: BF820200

000000000000531c <label_0A47>:
	v_mul_f32_e64 v4, -v48, s6                                 // 00000000531C: D1050004 20000D30
	v_mul_f32_e64 v5, -v49, s6                                 // 000000005324: D1050005 20000D31
	v_mul_f32_e64 v6, -v50, s6                                 // 00000000532C: D1050006 20000D32
	v_mul_f32_e64 v7, -v51, s6                                 // 000000005334: D1050007 20000D33
	v_exp_f32_e32 v4, v4                                       // 00000000533C: 7E084104
	v_exp_f32_e32 v5, v5                                       // 000000005340: 7E0A4105
	v_exp_f32_e32 v6, v6                                       // 000000005344: 7E0C4106
	v_exp_f32_e32 v7, v7                                       // 000000005348: 7E0E4107
	v_add_f32_e64 v4, v4, 1.0                                  // 00000000534C: D1010004 0001E504
	v_add_f32_e64 v5, v5, 1.0                                  // 000000005354: D1010005 0001E505
	v_add_f32_e64 v6, v6, 1.0                                  // 00000000535C: D1010006 0001E506
	v_add_f32_e64 v7, v7, 1.0                                  // 000000005364: D1010007 0001E507
	v_rcp_f32_e32 v4, v4                                       // 00000000536C: 7E084504
	v_rcp_f32_e32 v5, v5                                       // 000000005370: 7E0A4505
	v_rcp_f32_e32 v6, v6                                       // 000000005374: 7E0C4506
	v_rcp_f32_e32 v7, v7                                       // 000000005378: 7E0E4507
	v_mul_f32_e32 v48, v48, v4                                 // 00000000537C: 0A600930
	v_mul_f32_e32 v49, v49, v5                                 // 000000005380: 0A620B31
	v_mul_f32_e32 v50, v50, v6                                 // 000000005384: 0A640D32
	v_mul_f32_e32 v51, v51, v7                                 // 000000005388: 0A660F33
	v_mul_f32_e32 v48, v48, v112                               // 00000000538C: 0A60E130
	v_mul_f32_e32 v49, v49, v113                               // 000000005390: 0A62E331
	v_mul_f32_e32 v50, v50, v114                               // 000000005394: 0A64E532
	v_mul_f32_e32 v51, v51, v115                               // 000000005398: 0A66E733
	v_mul_f32_e64 v4, -v52, s6                                 // 00000000539C: D1050004 20000D34
	v_mul_f32_e64 v5, -v53, s6                                 // 0000000053A4: D1050005 20000D35
	v_mul_f32_e64 v6, -v54, s6                                 // 0000000053AC: D1050006 20000D36
	v_mul_f32_e64 v7, -v55, s6                                 // 0000000053B4: D1050007 20000D37
	v_exp_f32_e32 v4, v4                                       // 0000000053BC: 7E084104
	v_exp_f32_e32 v5, v5                                       // 0000000053C0: 7E0A4105
	v_exp_f32_e32 v6, v6                                       // 0000000053C4: 7E0C4106
	v_exp_f32_e32 v7, v7                                       // 0000000053C8: 7E0E4107
	v_add_f32_e64 v4, v4, 1.0                                  // 0000000053CC: D1010004 0001E504
	v_add_f32_e64 v5, v5, 1.0                                  // 0000000053D4: D1010005 0001E505
	v_add_f32_e64 v6, v6, 1.0                                  // 0000000053DC: D1010006 0001E506
	v_add_f32_e64 v7, v7, 1.0                                  // 0000000053E4: D1010007 0001E507
	v_rcp_f32_e32 v4, v4                                       // 0000000053EC: 7E084504
	v_rcp_f32_e32 v5, v5                                       // 0000000053F0: 7E0A4505
	v_rcp_f32_e32 v6, v6                                       // 0000000053F4: 7E0C4506
	v_rcp_f32_e32 v7, v7                                       // 0000000053F8: 7E0E4507
	v_mul_f32_e32 v52, v52, v4                                 // 0000000053FC: 0A680934
	v_mul_f32_e32 v53, v53, v5                                 // 000000005400: 0A6A0B35
	v_mul_f32_e32 v54, v54, v6                                 // 000000005404: 0A6C0D36
	v_mul_f32_e32 v55, v55, v7                                 // 000000005408: 0A6E0F37
	v_mul_f32_e32 v52, v52, v116                               // 00000000540C: 0A68E934
	v_mul_f32_e32 v53, v53, v117                               // 000000005410: 0A6AEB35
	v_mul_f32_e32 v54, v54, v118                               // 000000005414: 0A6CED36
	v_mul_f32_e32 v55, v55, v119                               // 000000005418: 0A6EEF37
	v_mul_f32_e64 v4, -v56, s6                                 // 00000000541C: D1050004 20000D38
	v_mul_f32_e64 v5, -v57, s6                                 // 000000005424: D1050005 20000D39
	v_mul_f32_e64 v6, -v58, s6                                 // 00000000542C: D1050006 20000D3A
	v_mul_f32_e64 v7, -v59, s6                                 // 000000005434: D1050007 20000D3B
	v_exp_f32_e32 v4, v4                                       // 00000000543C: 7E084104
	v_exp_f32_e32 v5, v5                                       // 000000005440: 7E0A4105
	v_exp_f32_e32 v6, v6                                       // 000000005444: 7E0C4106
	v_exp_f32_e32 v7, v7                                       // 000000005448: 7E0E4107
	v_add_f32_e64 v4, v4, 1.0                                  // 00000000544C: D1010004 0001E504
	v_add_f32_e64 v5, v5, 1.0                                  // 000000005454: D1010005 0001E505
	v_add_f32_e64 v6, v6, 1.0                                  // 00000000545C: D1010006 0001E506
	v_add_f32_e64 v7, v7, 1.0                                  // 000000005464: D1010007 0001E507
	v_rcp_f32_e32 v4, v4                                       // 00000000546C: 7E084504
	v_rcp_f32_e32 v5, v5                                       // 000000005470: 7E0A4505
	v_rcp_f32_e32 v6, v6                                       // 000000005474: 7E0C4506
	v_rcp_f32_e32 v7, v7                                       // 000000005478: 7E0E4507
	v_mul_f32_e32 v56, v56, v4                                 // 00000000547C: 0A700938
	v_mul_f32_e32 v57, v57, v5                                 // 000000005480: 0A720B39
	v_mul_f32_e32 v58, v58, v6                                 // 000000005484: 0A740D3A
	v_mul_f32_e32 v59, v59, v7                                 // 000000005488: 0A760F3B
	v_mul_f32_e32 v56, v56, v120                               // 00000000548C: 0A70F138
	v_mul_f32_e32 v57, v57, v121                               // 000000005490: 0A72F339
	v_mul_f32_e32 v58, v58, v122                               // 000000005494: 0A74F53A
	v_mul_f32_e32 v59, v59, v123                               // 000000005498: 0A76F73B
	v_mul_f32_e64 v4, -v60, s6                                 // 00000000549C: D1050004 20000D3C
	v_mul_f32_e64 v5, -v61, s6                                 // 0000000054A4: D1050005 20000D3D
	v_mul_f32_e64 v6, -v62, s6                                 // 0000000054AC: D1050006 20000D3E
	v_mul_f32_e64 v7, -v63, s6                                 // 0000000054B4: D1050007 20000D3F
	v_exp_f32_e32 v4, v4                                       // 0000000054BC: 7E084104
	v_exp_f32_e32 v5, v5                                       // 0000000054C0: 7E0A4105
	v_exp_f32_e32 v6, v6                                       // 0000000054C4: 7E0C4106
	v_exp_f32_e32 v7, v7                                       // 0000000054C8: 7E0E4107
	v_add_f32_e64 v4, v4, 1.0                                  // 0000000054CC: D1010004 0001E504
	v_add_f32_e64 v5, v5, 1.0                                  // 0000000054D4: D1010005 0001E505
	v_add_f32_e64 v6, v6, 1.0                                  // 0000000054DC: D1010006 0001E506
	v_add_f32_e64 v7, v7, 1.0                                  // 0000000054E4: D1010007 0001E507
	v_rcp_f32_e32 v4, v4                                       // 0000000054EC: 7E084504
	v_rcp_f32_e32 v5, v5                                       // 0000000054F0: 7E0A4505
	v_rcp_f32_e32 v6, v6                                       // 0000000054F4: 7E0C4506
	v_rcp_f32_e32 v7, v7                                       // 0000000054F8: 7E0E4507
	v_mul_f32_e32 v60, v60, v4                                 // 0000000054FC: 0A78093C
	v_mul_f32_e32 v61, v61, v5                                 // 000000005500: 0A7A0B3D
	v_mul_f32_e32 v62, v62, v6                                 // 000000005504: 0A7C0D3E
	v_mul_f32_e32 v63, v63, v7                                 // 000000005508: 0A7E0F3F
	v_mul_f32_e32 v60, v60, v124                               // 00000000550C: 0A78F93C
	v_mul_f32_e32 v61, v61, v125                               // 000000005510: 0A7AFB3D
	v_mul_f32_e32 v62, v62, v126                               // 000000005514: 0A7CFD3E
	v_mul_f32_e32 v63, v63, v127                               // 000000005518: 0A7EFF3F
	v_mul_f32_e64 v4, -v64, s6                                 // 00000000551C: D1050004 20000D40
	v_mul_f32_e64 v5, -v65, s6                                 // 000000005524: D1050005 20000D41
	v_mul_f32_e64 v6, -v66, s6                                 // 00000000552C: D1050006 20000D42
	v_mul_f32_e64 v7, -v67, s6                                 // 000000005534: D1050007 20000D43
	v_exp_f32_e32 v4, v4                                       // 00000000553C: 7E084104
	v_exp_f32_e32 v5, v5                                       // 000000005540: 7E0A4105
	v_exp_f32_e32 v6, v6                                       // 000000005544: 7E0C4106
	v_exp_f32_e32 v7, v7                                       // 000000005548: 7E0E4107
	v_add_f32_e64 v4, v4, 1.0                                  // 00000000554C: D1010004 0001E504
	v_add_f32_e64 v5, v5, 1.0                                  // 000000005554: D1010005 0001E505
	v_add_f32_e64 v6, v6, 1.0                                  // 00000000555C: D1010006 0001E506
	v_add_f32_e64 v7, v7, 1.0                                  // 000000005564: D1010007 0001E507
	v_rcp_f32_e32 v4, v4                                       // 00000000556C: 7E084504
	v_rcp_f32_e32 v5, v5                                       // 000000005570: 7E0A4505
	v_rcp_f32_e32 v6, v6                                       // 000000005574: 7E0C4506
	v_rcp_f32_e32 v7, v7                                       // 000000005578: 7E0E4507
	v_mul_f32_e32 v64, v64, v4                                 // 00000000557C: 0A800940
	v_mul_f32_e32 v65, v65, v5                                 // 000000005580: 0A820B41
	v_mul_f32_e32 v66, v66, v6                                 // 000000005584: 0A840D42
	v_mul_f32_e32 v67, v67, v7                                 // 000000005588: 0A860F43
	v_mul_f32_e32 v64, v64, v128                               // 00000000558C: 0A810140
	v_mul_f32_e32 v65, v65, v129                               // 000000005590: 0A830341
	v_mul_f32_e32 v66, v66, v130                               // 000000005594: 0A850542
	v_mul_f32_e32 v67, v67, v131                               // 000000005598: 0A870743
	v_mul_f32_e64 v4, -v68, s6                                 // 00000000559C: D1050004 20000D44
	v_mul_f32_e64 v5, -v69, s6                                 // 0000000055A4: D1050005 20000D45
	v_mul_f32_e64 v6, -v70, s6                                 // 0000000055AC: D1050006 20000D46
	v_mul_f32_e64 v7, -v71, s6                                 // 0000000055B4: D1050007 20000D47
	v_exp_f32_e32 v4, v4                                       // 0000000055BC: 7E084104
	v_exp_f32_e32 v5, v5                                       // 0000000055C0: 7E0A4105
	v_exp_f32_e32 v6, v6                                       // 0000000055C4: 7E0C4106
	v_exp_f32_e32 v7, v7                                       // 0000000055C8: 7E0E4107
	v_add_f32_e64 v4, v4, 1.0                                  // 0000000055CC: D1010004 0001E504
	v_add_f32_e64 v5, v5, 1.0                                  // 0000000055D4: D1010005 0001E505
	v_add_f32_e64 v6, v6, 1.0                                  // 0000000055DC: D1010006 0001E506
	v_add_f32_e64 v7, v7, 1.0                                  // 0000000055E4: D1010007 0001E507
	v_rcp_f32_e32 v4, v4                                       // 0000000055EC: 7E084504
	v_rcp_f32_e32 v5, v5                                       // 0000000055F0: 7E0A4505
	v_rcp_f32_e32 v6, v6                                       // 0000000055F4: 7E0C4506
	v_rcp_f32_e32 v7, v7                                       // 0000000055F8: 7E0E4507
	v_mul_f32_e32 v68, v68, v4                                 // 0000000055FC: 0A880944
	v_mul_f32_e32 v69, v69, v5                                 // 000000005600: 0A8A0B45
	v_mul_f32_e32 v70, v70, v6                                 // 000000005604: 0A8C0D46
	v_mul_f32_e32 v71, v71, v7                                 // 000000005608: 0A8E0F47
	v_mul_f32_e32 v68, v68, v132                               // 00000000560C: 0A890944
	v_mul_f32_e32 v69, v69, v133                               // 000000005610: 0A8B0B45
	v_mul_f32_e32 v70, v70, v134                               // 000000005614: 0A8D0D46
	v_mul_f32_e32 v71, v71, v135                               // 000000005618: 0A8F0F47
	v_mul_f32_e64 v4, -v72, s6                                 // 00000000561C: D1050004 20000D48
	v_mul_f32_e64 v5, -v73, s6                                 // 000000005624: D1050005 20000D49
	v_mul_f32_e64 v6, -v74, s6                                 // 00000000562C: D1050006 20000D4A
	v_mul_f32_e64 v7, -v75, s6                                 // 000000005634: D1050007 20000D4B
	v_exp_f32_e32 v4, v4                                       // 00000000563C: 7E084104
	v_exp_f32_e32 v5, v5                                       // 000000005640: 7E0A4105
	v_exp_f32_e32 v6, v6                                       // 000000005644: 7E0C4106
	v_exp_f32_e32 v7, v7                                       // 000000005648: 7E0E4107
	v_add_f32_e64 v4, v4, 1.0                                  // 00000000564C: D1010004 0001E504
	v_add_f32_e64 v5, v5, 1.0                                  // 000000005654: D1010005 0001E505
	v_add_f32_e64 v6, v6, 1.0                                  // 00000000565C: D1010006 0001E506
	v_add_f32_e64 v7, v7, 1.0                                  // 000000005664: D1010007 0001E507
	v_rcp_f32_e32 v4, v4                                       // 00000000566C: 7E084504
	v_rcp_f32_e32 v5, v5                                       // 000000005670: 7E0A4505
	v_rcp_f32_e32 v6, v6                                       // 000000005674: 7E0C4506
	v_rcp_f32_e32 v7, v7                                       // 000000005678: 7E0E4507
	v_mul_f32_e32 v72, v72, v4                                 // 00000000567C: 0A900948
	v_mul_f32_e32 v73, v73, v5                                 // 000000005680: 0A920B49
	v_mul_f32_e32 v74, v74, v6                                 // 000000005684: 0A940D4A
	v_mul_f32_e32 v75, v75, v7                                 // 000000005688: 0A960F4B
	v_mul_f32_e32 v72, v72, v136                               // 00000000568C: 0A911148
	v_mul_f32_e32 v73, v73, v137                               // 000000005690: 0A931349
	v_mul_f32_e32 v74, v74, v138                               // 000000005694: 0A95154A
	v_mul_f32_e32 v75, v75, v139                               // 000000005698: 0A97174B
	v_mul_f32_e64 v4, -v76, s6                                 // 00000000569C: D1050004 20000D4C
	v_mul_f32_e64 v5, -v77, s6                                 // 0000000056A4: D1050005 20000D4D
	v_mul_f32_e64 v6, -v78, s6                                 // 0000000056AC: D1050006 20000D4E
	v_mul_f32_e64 v7, -v79, s6                                 // 0000000056B4: D1050007 20000D4F
	v_exp_f32_e32 v4, v4                                       // 0000000056BC: 7E084104
	v_exp_f32_e32 v5, v5                                       // 0000000056C0: 7E0A4105
	v_exp_f32_e32 v6, v6                                       // 0000000056C4: 7E0C4106
	v_exp_f32_e32 v7, v7                                       // 0000000056C8: 7E0E4107
	v_add_f32_e64 v4, v4, 1.0                                  // 0000000056CC: D1010004 0001E504
	v_add_f32_e64 v5, v5, 1.0                                  // 0000000056D4: D1010005 0001E505
	v_add_f32_e64 v6, v6, 1.0                                  // 0000000056DC: D1010006 0001E506
	v_add_f32_e64 v7, v7, 1.0                                  // 0000000056E4: D1010007 0001E507
	v_rcp_f32_e32 v4, v4                                       // 0000000056EC: 7E084504
	v_rcp_f32_e32 v5, v5                                       // 0000000056F0: 7E0A4505
	v_rcp_f32_e32 v6, v6                                       // 0000000056F4: 7E0C4506
	v_rcp_f32_e32 v7, v7                                       // 0000000056F8: 7E0E4507
	v_mul_f32_e32 v76, v76, v4                                 // 0000000056FC: 0A98094C
	v_mul_f32_e32 v77, v77, v5                                 // 000000005700: 0A9A0B4D
	v_mul_f32_e32 v78, v78, v6                                 // 000000005704: 0A9C0D4E
	v_mul_f32_e32 v79, v79, v7                                 // 000000005708: 0A9E0F4F
	v_mul_f32_e32 v76, v76, v140                               // 00000000570C: 0A99194C
	v_mul_f32_e32 v77, v77, v141                               // 000000005710: 0A9B1B4D
	v_mul_f32_e32 v78, v78, v142                               // 000000005714: 0A9D1D4E
	v_mul_f32_e32 v79, v79, v143                               // 000000005718: 0A9F1F4F
	v_mul_f32_e64 v4, -v80, s6                                 // 00000000571C: D1050004 20000D50
	v_mul_f32_e64 v5, -v81, s6                                 // 000000005724: D1050005 20000D51
	v_mul_f32_e64 v6, -v82, s6                                 // 00000000572C: D1050006 20000D52
	v_mul_f32_e64 v7, -v83, s6                                 // 000000005734: D1050007 20000D53
	v_exp_f32_e32 v4, v4                                       // 00000000573C: 7E084104
	v_exp_f32_e32 v5, v5                                       // 000000005740: 7E0A4105
	v_exp_f32_e32 v6, v6                                       // 000000005744: 7E0C4106
	v_exp_f32_e32 v7, v7                                       // 000000005748: 7E0E4107
	v_add_f32_e64 v4, v4, 1.0                                  // 00000000574C: D1010004 0001E504
	v_add_f32_e64 v5, v5, 1.0                                  // 000000005754: D1010005 0001E505
	v_add_f32_e64 v6, v6, 1.0                                  // 00000000575C: D1010006 0001E506
	v_add_f32_e64 v7, v7, 1.0                                  // 000000005764: D1010007 0001E507
	v_rcp_f32_e32 v4, v4                                       // 00000000576C: 7E084504
	v_rcp_f32_e32 v5, v5                                       // 000000005770: 7E0A4505
	v_rcp_f32_e32 v6, v6                                       // 000000005774: 7E0C4506
	v_rcp_f32_e32 v7, v7                                       // 000000005778: 7E0E4507
	v_mul_f32_e32 v80, v80, v4                                 // 00000000577C: 0AA00950
	v_mul_f32_e32 v81, v81, v5                                 // 000000005780: 0AA20B51
	v_mul_f32_e32 v82, v82, v6                                 // 000000005784: 0AA40D52
	v_mul_f32_e32 v83, v83, v7                                 // 000000005788: 0AA60F53
	v_mul_f32_e32 v80, v80, v144                               // 00000000578C: 0AA12150
	v_mul_f32_e32 v81, v81, v145                               // 000000005790: 0AA32351
	v_mul_f32_e32 v82, v82, v146                               // 000000005794: 0AA52552
	v_mul_f32_e32 v83, v83, v147                               // 000000005798: 0AA72753
	v_mul_f32_e64 v4, -v84, s6                                 // 00000000579C: D1050004 20000D54
	v_mul_f32_e64 v5, -v85, s6                                 // 0000000057A4: D1050005 20000D55
	v_mul_f32_e64 v6, -v86, s6                                 // 0000000057AC: D1050006 20000D56
	v_mul_f32_e64 v7, -v87, s6                                 // 0000000057B4: D1050007 20000D57
	v_exp_f32_e32 v4, v4                                       // 0000000057BC: 7E084104
	v_exp_f32_e32 v5, v5                                       // 0000000057C0: 7E0A4105
	v_exp_f32_e32 v6, v6                                       // 0000000057C4: 7E0C4106
	v_exp_f32_e32 v7, v7                                       // 0000000057C8: 7E0E4107
	v_add_f32_e64 v4, v4, 1.0                                  // 0000000057CC: D1010004 0001E504
	v_add_f32_e64 v5, v5, 1.0                                  // 0000000057D4: D1010005 0001E505
	v_add_f32_e64 v6, v6, 1.0                                  // 0000000057DC: D1010006 0001E506
	v_add_f32_e64 v7, v7, 1.0                                  // 0000000057E4: D1010007 0001E507
	v_rcp_f32_e32 v4, v4                                       // 0000000057EC: 7E084504
	v_rcp_f32_e32 v5, v5                                       // 0000000057F0: 7E0A4505
	v_rcp_f32_e32 v6, v6                                       // 0000000057F4: 7E0C4506
	v_rcp_f32_e32 v7, v7                                       // 0000000057F8: 7E0E4507
	v_mul_f32_e32 v84, v84, v4                                 // 0000000057FC: 0AA80954
	v_mul_f32_e32 v85, v85, v5                                 // 000000005800: 0AAA0B55
	v_mul_f32_e32 v86, v86, v6                                 // 000000005804: 0AAC0D56
	v_mul_f32_e32 v87, v87, v7                                 // 000000005808: 0AAE0F57
	v_mul_f32_e32 v84, v84, v148                               // 00000000580C: 0AA92954
	v_mul_f32_e32 v85, v85, v149                               // 000000005810: 0AAB2B55
	v_mul_f32_e32 v86, v86, v150                               // 000000005814: 0AAD2D56
	v_mul_f32_e32 v87, v87, v151                               // 000000005818: 0AAF2F57
	v_mul_f32_e64 v4, -v88, s6                                 // 00000000581C: D1050004 20000D58
	v_mul_f32_e64 v5, -v89, s6                                 // 000000005824: D1050005 20000D59
	v_mul_f32_e64 v6, -v90, s6                                 // 00000000582C: D1050006 20000D5A
	v_mul_f32_e64 v7, -v91, s6                                 // 000000005834: D1050007 20000D5B
	v_exp_f32_e32 v4, v4                                       // 00000000583C: 7E084104
	v_exp_f32_e32 v5, v5                                       // 000000005840: 7E0A4105
	v_exp_f32_e32 v6, v6                                       // 000000005844: 7E0C4106
	v_exp_f32_e32 v7, v7                                       // 000000005848: 7E0E4107
	v_add_f32_e64 v4, v4, 1.0                                  // 00000000584C: D1010004 0001E504
	v_add_f32_e64 v5, v5, 1.0                                  // 000000005854: D1010005 0001E505
	v_add_f32_e64 v6, v6, 1.0                                  // 00000000585C: D1010006 0001E506
	v_add_f32_e64 v7, v7, 1.0                                  // 000000005864: D1010007 0001E507
	v_rcp_f32_e32 v4, v4                                       // 00000000586C: 7E084504
	v_rcp_f32_e32 v5, v5                                       // 000000005870: 7E0A4505
	v_rcp_f32_e32 v6, v6                                       // 000000005874: 7E0C4506
	v_rcp_f32_e32 v7, v7                                       // 000000005878: 7E0E4507
	v_mul_f32_e32 v88, v88, v4                                 // 00000000587C: 0AB00958
	v_mul_f32_e32 v89, v89, v5                                 // 000000005880: 0AB20B59
	v_mul_f32_e32 v90, v90, v6                                 // 000000005884: 0AB40D5A
	v_mul_f32_e32 v91, v91, v7                                 // 000000005888: 0AB60F5B
	v_mul_f32_e32 v88, v88, v152                               // 00000000588C: 0AB13158
	v_mul_f32_e32 v89, v89, v153                               // 000000005890: 0AB33359
	v_mul_f32_e32 v90, v90, v154                               // 000000005894: 0AB5355A
	v_mul_f32_e32 v91, v91, v155                               // 000000005898: 0AB7375B
	v_mul_f32_e64 v4, -v92, s6                                 // 00000000589C: D1050004 20000D5C
	v_mul_f32_e64 v5, -v93, s6                                 // 0000000058A4: D1050005 20000D5D
	v_mul_f32_e64 v6, -v94, s6                                 // 0000000058AC: D1050006 20000D5E
	v_mul_f32_e64 v7, -v95, s6                                 // 0000000058B4: D1050007 20000D5F
	v_exp_f32_e32 v4, v4                                       // 0000000058BC: 7E084104
	v_exp_f32_e32 v5, v5                                       // 0000000058C0: 7E0A4105
	v_exp_f32_e32 v6, v6                                       // 0000000058C4: 7E0C4106
	v_exp_f32_e32 v7, v7                                       // 0000000058C8: 7E0E4107
	v_add_f32_e64 v4, v4, 1.0                                  // 0000000058CC: D1010004 0001E504
	v_add_f32_e64 v5, v5, 1.0                                  // 0000000058D4: D1010005 0001E505
	v_add_f32_e64 v6, v6, 1.0                                  // 0000000058DC: D1010006 0001E506
	v_add_f32_e64 v7, v7, 1.0                                  // 0000000058E4: D1010007 0001E507
	v_rcp_f32_e32 v4, v4                                       // 0000000058EC: 7E084504
	v_rcp_f32_e32 v5, v5                                       // 0000000058F0: 7E0A4505
	v_rcp_f32_e32 v6, v6                                       // 0000000058F4: 7E0C4506
	v_rcp_f32_e32 v7, v7                                       // 0000000058F8: 7E0E4507
	v_mul_f32_e32 v92, v92, v4                                 // 0000000058FC: 0AB8095C
	v_mul_f32_e32 v93, v93, v5                                 // 000000005900: 0ABA0B5D
	v_mul_f32_e32 v94, v94, v6                                 // 000000005904: 0ABC0D5E
	v_mul_f32_e32 v95, v95, v7                                 // 000000005908: 0ABE0F5F
	v_mul_f32_e32 v92, v92, v156                               // 00000000590C: 0AB9395C
	v_mul_f32_e32 v93, v93, v157                               // 000000005910: 0ABB3B5D
	v_mul_f32_e32 v94, v94, v158                               // 000000005914: 0ABD3D5E
	v_mul_f32_e32 v95, v95, v159                               // 000000005918: 0ABF3F5F
	v_mul_f32_e64 v4, -v96, s6                                 // 00000000591C: D1050004 20000D60
	v_mul_f32_e64 v5, -v97, s6                                 // 000000005924: D1050005 20000D61
	v_mul_f32_e64 v6, -v98, s6                                 // 00000000592C: D1050006 20000D62
	v_mul_f32_e64 v7, -v99, s6                                 // 000000005934: D1050007 20000D63
	v_exp_f32_e32 v4, v4                                       // 00000000593C: 7E084104
	v_exp_f32_e32 v5, v5                                       // 000000005940: 7E0A4105
	v_exp_f32_e32 v6, v6                                       // 000000005944: 7E0C4106
	v_exp_f32_e32 v7, v7                                       // 000000005948: 7E0E4107
	v_add_f32_e64 v4, v4, 1.0                                  // 00000000594C: D1010004 0001E504
	v_add_f32_e64 v5, v5, 1.0                                  // 000000005954: D1010005 0001E505
	v_add_f32_e64 v6, v6, 1.0                                  // 00000000595C: D1010006 0001E506
	v_add_f32_e64 v7, v7, 1.0                                  // 000000005964: D1010007 0001E507
	v_rcp_f32_e32 v4, v4                                       // 00000000596C: 7E084504
	v_rcp_f32_e32 v5, v5                                       // 000000005970: 7E0A4505
	v_rcp_f32_e32 v6, v6                                       // 000000005974: 7E0C4506
	v_rcp_f32_e32 v7, v7                                       // 000000005978: 7E0E4507
	v_mul_f32_e32 v96, v96, v4                                 // 00000000597C: 0AC00960
	v_mul_f32_e32 v97, v97, v5                                 // 000000005980: 0AC20B61
	v_mul_f32_e32 v98, v98, v6                                 // 000000005984: 0AC40D62
	v_mul_f32_e32 v99, v99, v7                                 // 000000005988: 0AC60F63
	v_mul_f32_e32 v96, v96, v160                               // 00000000598C: 0AC14160
	v_mul_f32_e32 v97, v97, v161                               // 000000005990: 0AC34361
	v_mul_f32_e32 v98, v98, v162                               // 000000005994: 0AC54562
	v_mul_f32_e32 v99, v99, v163                               // 000000005998: 0AC74763
	v_mul_f32_e64 v4, -v100, s6                                // 00000000599C: D1050004 20000D64
	v_mul_f32_e64 v5, -v101, s6                                // 0000000059A4: D1050005 20000D65
	v_mul_f32_e64 v6, -v102, s6                                // 0000000059AC: D1050006 20000D66
	v_mul_f32_e64 v7, -v103, s6                                // 0000000059B4: D1050007 20000D67
	v_exp_f32_e32 v4, v4                                       // 0000000059BC: 7E084104
	v_exp_f32_e32 v5, v5                                       // 0000000059C0: 7E0A4105
	v_exp_f32_e32 v6, v6                                       // 0000000059C4: 7E0C4106
	v_exp_f32_e32 v7, v7                                       // 0000000059C8: 7E0E4107
	v_add_f32_e64 v4, v4, 1.0                                  // 0000000059CC: D1010004 0001E504
	v_add_f32_e64 v5, v5, 1.0                                  // 0000000059D4: D1010005 0001E505
	v_add_f32_e64 v6, v6, 1.0                                  // 0000000059DC: D1010006 0001E506
	v_add_f32_e64 v7, v7, 1.0                                  // 0000000059E4: D1010007 0001E507
	v_rcp_f32_e32 v4, v4                                       // 0000000059EC: 7E084504
	v_rcp_f32_e32 v5, v5                                       // 0000000059F0: 7E0A4505
	v_rcp_f32_e32 v6, v6                                       // 0000000059F4: 7E0C4506
	v_rcp_f32_e32 v7, v7                                       // 0000000059F8: 7E0E4507
	v_mul_f32_e32 v100, v100, v4                               // 0000000059FC: 0AC80964
	v_mul_f32_e32 v101, v101, v5                               // 000000005A00: 0ACA0B65
	v_mul_f32_e32 v102, v102, v6                               // 000000005A04: 0ACC0D66
	v_mul_f32_e32 v103, v103, v7                               // 000000005A08: 0ACE0F67
	v_mul_f32_e32 v100, v100, v164                             // 000000005A0C: 0AC94964
	v_mul_f32_e32 v101, v101, v165                             // 000000005A10: 0ACB4B65
	v_mul_f32_e32 v102, v102, v166                             // 000000005A14: 0ACD4D66
	v_mul_f32_e32 v103, v103, v167                             // 000000005A18: 0ACF4F67
	v_mul_f32_e64 v4, -v104, s6                                // 000000005A1C: D1050004 20000D68
	v_mul_f32_e64 v5, -v105, s6                                // 000000005A24: D1050005 20000D69
	v_mul_f32_e64 v6, -v106, s6                                // 000000005A2C: D1050006 20000D6A
	v_mul_f32_e64 v7, -v107, s6                                // 000000005A34: D1050007 20000D6B
	v_exp_f32_e32 v4, v4                                       // 000000005A3C: 7E084104
	v_exp_f32_e32 v5, v5                                       // 000000005A40: 7E0A4105
	v_exp_f32_e32 v6, v6                                       // 000000005A44: 7E0C4106
	v_exp_f32_e32 v7, v7                                       // 000000005A48: 7E0E4107
	v_add_f32_e64 v4, v4, 1.0                                  // 000000005A4C: D1010004 0001E504
	v_add_f32_e64 v5, v5, 1.0                                  // 000000005A54: D1010005 0001E505
	v_add_f32_e64 v6, v6, 1.0                                  // 000000005A5C: D1010006 0001E506
	v_add_f32_e64 v7, v7, 1.0                                  // 000000005A64: D1010007 0001E507
	v_rcp_f32_e32 v4, v4                                       // 000000005A6C: 7E084504
	v_rcp_f32_e32 v5, v5                                       // 000000005A70: 7E0A4505
	v_rcp_f32_e32 v6, v6                                       // 000000005A74: 7E0C4506
	v_rcp_f32_e32 v7, v7                                       // 000000005A78: 7E0E4507
	v_mul_f32_e32 v104, v104, v4                               // 000000005A7C: 0AD00968
	v_mul_f32_e32 v105, v105, v5                               // 000000005A80: 0AD20B69
	v_mul_f32_e32 v106, v106, v6                               // 000000005A84: 0AD40D6A
	v_mul_f32_e32 v107, v107, v7                               // 000000005A88: 0AD60F6B
	v_mul_f32_e32 v104, v104, v168                             // 000000005A8C: 0AD15168
	v_mul_f32_e32 v105, v105, v169                             // 000000005A90: 0AD35369
	v_mul_f32_e32 v106, v106, v170                             // 000000005A94: 0AD5556A
	v_mul_f32_e32 v107, v107, v171                             // 000000005A98: 0AD7576B
	v_mul_f32_e64 v4, -v108, s6                                // 000000005A9C: D1050004 20000D6C
	v_mul_f32_e64 v5, -v109, s6                                // 000000005AA4: D1050005 20000D6D
	v_mul_f32_e64 v6, -v110, s6                                // 000000005AAC: D1050006 20000D6E
	v_mul_f32_e64 v7, -v111, s6                                // 000000005AB4: D1050007 20000D6F
	v_exp_f32_e32 v4, v4                                       // 000000005ABC: 7E084104
	v_exp_f32_e32 v5, v5                                       // 000000005AC0: 7E0A4105
	v_exp_f32_e32 v6, v6                                       // 000000005AC4: 7E0C4106
	v_exp_f32_e32 v7, v7                                       // 000000005AC8: 7E0E4107
	v_add_f32_e64 v4, v4, 1.0                                  // 000000005ACC: D1010004 0001E504
	v_add_f32_e64 v5, v5, 1.0                                  // 000000005AD4: D1010005 0001E505
	v_add_f32_e64 v6, v6, 1.0                                  // 000000005ADC: D1010006 0001E506
	v_add_f32_e64 v7, v7, 1.0                                  // 000000005AE4: D1010007 0001E507
	v_rcp_f32_e32 v4, v4                                       // 000000005AEC: 7E084504
	v_rcp_f32_e32 v5, v5                                       // 000000005AF0: 7E0A4505
	v_rcp_f32_e32 v6, v6                                       // 000000005AF4: 7E0C4506
	v_rcp_f32_e32 v7, v7                                       // 000000005AF8: 7E0E4507
	v_mul_f32_e32 v108, v108, v4                               // 000000005AFC: 0AD8096C
	v_mul_f32_e32 v109, v109, v5                               // 000000005B00: 0ADA0B6D
	v_mul_f32_e32 v110, v110, v6                               // 000000005B04: 0ADC0D6E
	v_mul_f32_e32 v111, v111, v7                               // 000000005B08: 0ADE0F6F
	v_mul_f32_e32 v108, v108, v172                             // 000000005B0C: 0AD9596C
	v_mul_f32_e32 v109, v109, v173                             // 000000005B10: 0ADB5B6D
	v_mul_f32_e32 v110, v110, v174                             // 000000005B14: 0ADD5D6E
	v_mul_f32_e32 v111, v111, v175                             // 000000005B18: 0ADF5F6F

0000000000005b1c <label_0C47>:
	s_cmp_eq_u32 s7, 0                                         // 000000005B1C: BF068007
	s_cbranch_scc0 label_0C51                                  // 000000005B20: BF840008
	v_and_b32_e32 v4, 15, v0                                   // 000000005B24: 2608008F
	v_lshlrev_b32_e32 v4, 2, v4                                // 000000005B28: 24080882
	buffer_load_dword v28, v4, s[12:15], 0 offen               // 000000005B2C: E0501000 80031C04
	v_add_u32_e32 v4, 64, v4                                   // 000000005B34: 680808C0
	buffer_load_dword v29, v4, s[12:15], 0 offen               // 000000005B38: E0501000 80031D04
	v_add_u32_e32 v4, 64, v4                                   // 000000005B40: 680808C0

0000000000005b44 <label_0C51>:
	v_lshlrev_b32_e32 v4, 2, v0                                // 000000005B44: 24080082
	s_mul_i32 s60, 0x100, s7                                   // 000000005B48: 923C07FF 00000100
	v_add_u32_e32 v120, s60, v4                                // 000000005B50: 68F0083C
	v_and_b32_e32 v4, 15, v0                                   // 000000005B54: 2608008F
	v_lshlrev_b32_e32 v121, 2, v4                              // 000000005B58: 24F20882
	s_waitcnt lgkmcnt(0)                                       // 000000005B5C: BF8CC07F
	s_barrier                                                  // 000000005B60: BF8A0000
	v_mov_b32_e32 v112, 0x358637bd                             // 000000005B64: 7EE002FF 358637BD
	v_max3_f32 v112, |v48|, |v49|, v112                        // 000000005B6C: D1D30370 05C26330
	v_max3_f32 v112, |v50|, |v51|, v112                        // 000000005B74: D1D30370 05C26732
	v_max3_f32 v112, |v56|, |v57|, v112                        // 000000005B7C: D1D30370 05C27338
	v_max3_f32 v112, |v58|, |v59|, v112                        // 000000005B84: D1D30370 05C2773A
	ds_write_b32 v120, v112                                    // 000000005B8C: D81A0000 00007078
	s_waitcnt lgkmcnt(0)                                       // 000000005B94: BF8CC07F
	s_barrier                                                  // 000000005B98: BF8A0000
	ds_read_b32 v4, v121                                       // 000000005B9C: D86C0000 04000079
	ds_read_b32 v5, v121 offset:64                             // 000000005BA4: D86C0040 05000079
	ds_read_b32 v6, v121 offset:128                            // 000000005BAC: D86C0080 06000079
	ds_read_b32 v7, v121 offset:192                            // 000000005BB4: D86C00C0 07000079
	ds_read_b32 v8, v121 offset:256                            // 000000005BBC: D86C0100 08000079
	ds_read_b32 v9, v121 offset:320                            // 000000005BC4: D86C0140 09000079
	ds_read_b32 v10, v121 offset:384                           // 000000005BCC: D86C0180 0A000079
	ds_read_b32 v11, v121 offset:448                           // 000000005BD4: D86C01C0 0B000079
	ds_read_b32 v12, v121 offset:512                           // 000000005BDC: D86C0200 0C000079
	ds_read_b32 v13, v121 offset:576                           // 000000005BE4: D86C0240 0D000079
	ds_read_b32 v14, v121 offset:640                           // 000000005BEC: D86C0280 0E000079
	ds_read_b32 v15, v121 offset:704                           // 000000005BF4: D86C02C0 0F000079
	ds_read_b32 v16, v121 offset:768                           // 000000005BFC: D86C0300 10000079
	ds_read_b32 v17, v121 offset:832                           // 000000005C04: D86C0340 11000079
	ds_read_b32 v18, v121 offset:896                           // 000000005C0C: D86C0380 12000079
	ds_read_b32 v19, v121 offset:960                           // 000000005C14: D86C03C0 13000079
	s_waitcnt lgkmcnt(0)                                       // 000000005C1C: BF8CC07F
	s_barrier                                                  // 000000005C20: BF8A0000
	v_max3_f32 v112, |v4|, |v5|, v112                          // 000000005C24: D1D30370 05C20B04
	v_max3_f32 v112, |v6|, |v7|, v112                          // 000000005C2C: D1D30370 05C20F06
	v_max3_f32 v112, |v8|, |v9|, v112                          // 000000005C34: D1D30370 05C21308
	v_max3_f32 v112, |v10|, |v11|, v112                        // 000000005C3C: D1D30370 05C2170A
	v_max3_f32 v112, |v12|, |v13|, v112                        // 000000005C44: D1D30370 05C21B0C
	v_max3_f32 v112, |v14|, |v15|, v112                        // 000000005C4C: D1D30370 05C21F0E
	v_max3_f32 v112, |v16|, |v17|, v112                        // 000000005C54: D1D30370 05C22310
	v_max3_f32 v112, |v18|, |v19|, v112                        // 000000005C5C: D1D30370 05C22712
	v_rcp_f32_e32 v112, v112                                   // 000000005C64: 7EE04570
	v_mov_b32_e32 v4, 0x43700000                               // 000000005C68: 7E0802FF 43700000
	v_mul_f32_e32 v112, v4, v112                               // 000000005C70: 0AE0E104
	v_mov_b32_e32 v4, v112                                     // 000000005C74: 7E080370
	v_mov_b32_e32 v5, v4                                       // 000000005C78: 7E0A0304
	v_pk_mul_f32 v[48:49], v[4:5], v[48:49]                    // 000000005C7C: D3B14030 18026104
	v_pk_mul_f32 v[50:51], v[4:5], v[50:51]                    // 000000005C84: D3B14032 18026504
	v_cvt_pk_fp8_f32 v48, v48, v49                             // 000000005C8C: D2A20030 00026330
	v_cvt_pk_fp8_f32 v48, v50, v51 op_sel:[0,0,1]              // 000000005C94: D2A24030 00026732
	v_pk_mul_f32 v[56:57], v[4:5], v[56:57]                    // 000000005C9C: D3B14038 18027104
	v_pk_mul_f32 v[58:59], v[4:5], v[58:59]                    // 000000005CA4: D3B1403A 18027504
	v_cvt_pk_fp8_f32 v56, v56, v57                             // 000000005CAC: D2A20038 00027338
	v_cvt_pk_fp8_f32 v56, v58, v59 op_sel:[0,0,1]              // 000000005CB4: D2A24038 0002773A
	v_rcp_f32_e32 v112, v112                                   // 000000005CBC: 7EE04570
	v_mov_b32_e32 v114, 0x358637bd                             // 000000005CC0: 7EE402FF 358637BD
	v_max3_f32 v114, |v64|, |v65|, v114                        // 000000005CC8: D1D30372 05CA8340
	v_max3_f32 v114, |v66|, |v67|, v114                        // 000000005CD0: D1D30372 05CA8742
	v_max3_f32 v114, |v72|, |v73|, v114                        // 000000005CD8: D1D30372 05CA9348
	v_max3_f32 v114, |v74|, |v75|, v114                        // 000000005CE0: D1D30372 05CA974A
	ds_write_b32 v120, v114                                    // 000000005CE8: D81A0000 00007278
	s_waitcnt lgkmcnt(0)                                       // 000000005CF0: BF8CC07F
	s_barrier                                                  // 000000005CF4: BF8A0000
	ds_read_b32 v4, v121                                       // 000000005CF8: D86C0000 04000079
	ds_read_b32 v5, v121 offset:64                             // 000000005D00: D86C0040 05000079
	ds_read_b32 v6, v121 offset:128                            // 000000005D08: D86C0080 06000079
	ds_read_b32 v7, v121 offset:192                            // 000000005D10: D86C00C0 07000079
	ds_read_b32 v8, v121 offset:256                            // 000000005D18: D86C0100 08000079
	ds_read_b32 v9, v121 offset:320                            // 000000005D20: D86C0140 09000079
	ds_read_b32 v10, v121 offset:384                           // 000000005D28: D86C0180 0A000079
	ds_read_b32 v11, v121 offset:448                           // 000000005D30: D86C01C0 0B000079
	ds_read_b32 v12, v121 offset:512                           // 000000005D38: D86C0200 0C000079
	ds_read_b32 v13, v121 offset:576                           // 000000005D40: D86C0240 0D000079
	ds_read_b32 v14, v121 offset:640                           // 000000005D48: D86C0280 0E000079
	ds_read_b32 v15, v121 offset:704                           // 000000005D50: D86C02C0 0F000079
	ds_read_b32 v16, v121 offset:768                           // 000000005D58: D86C0300 10000079
	ds_read_b32 v17, v121 offset:832                           // 000000005D60: D86C0340 11000079
	ds_read_b32 v18, v121 offset:896                           // 000000005D68: D86C0380 12000079
	ds_read_b32 v19, v121 offset:960                           // 000000005D70: D86C03C0 13000079
	s_waitcnt lgkmcnt(0)                                       // 000000005D78: BF8CC07F
	s_barrier                                                  // 000000005D7C: BF8A0000
	v_max3_f32 v114, |v4|, |v5|, v114                          // 000000005D80: D1D30372 05CA0B04
	v_max3_f32 v114, |v6|, |v7|, v114                          // 000000005D88: D1D30372 05CA0F06
	v_max3_f32 v114, |v8|, |v9|, v114                          // 000000005D90: D1D30372 05CA1308
	v_max3_f32 v114, |v10|, |v11|, v114                        // 000000005D98: D1D30372 05CA170A
	v_max3_f32 v114, |v12|, |v13|, v114                        // 000000005DA0: D1D30372 05CA1B0C
	v_max3_f32 v114, |v14|, |v15|, v114                        // 000000005DA8: D1D30372 05CA1F0E
	v_max3_f32 v114, |v16|, |v17|, v114                        // 000000005DB0: D1D30372 05CA2310
	v_max3_f32 v114, |v18|, |v19|, v114                        // 000000005DB8: D1D30372 05CA2712
	v_rcp_f32_e32 v114, v114                                   // 000000005DC0: 7EE44572
	v_mov_b32_e32 v4, 0x43700000                               // 000000005DC4: 7E0802FF 43700000
	v_mul_f32_e32 v114, v4, v114                               // 000000005DCC: 0AE4E504
	v_mov_b32_e32 v4, v114                                     // 000000005DD0: 7E080372
	v_mov_b32_e32 v5, v4                                       // 000000005DD4: 7E0A0304
	v_pk_mul_f32 v[64:65], v[4:5], v[64:65]                    // 000000005DD8: D3B14040 18028104
	v_pk_mul_f32 v[66:67], v[4:5], v[66:67]                    // 000000005DE0: D3B14042 18028504
	v_cvt_pk_fp8_f32 v64, v64, v65                             // 000000005DE8: D2A20040 00028340
	v_cvt_pk_fp8_f32 v64, v66, v67 op_sel:[0,0,1]              // 000000005DF0: D2A24040 00028742
	v_pk_mul_f32 v[72:73], v[4:5], v[72:73]                    // 000000005DF8: D3B14048 18029104
	v_pk_mul_f32 v[74:75], v[4:5], v[74:75]                    // 000000005E00: D3B1404A 18029504
	v_cvt_pk_fp8_f32 v72, v72, v73                             // 000000005E08: D2A20048 00029348
	v_cvt_pk_fp8_f32 v72, v74, v75 op_sel:[0,0,1]              // 000000005E10: D2A24048 0002974A
	v_rcp_f32_e32 v114, v114                                   // 000000005E18: 7EE44572
	v_mov_b32_e32 v116, 0x358637bd                             // 000000005E1C: 7EE802FF 358637BD
	v_max3_f32 v116, |v80|, |v81|, v116                        // 000000005E24: D1D30374 05D2A350
	v_max3_f32 v116, |v82|, |v83|, v116                        // 000000005E2C: D1D30374 05D2A752
	v_max3_f32 v116, |v88|, |v89|, v116                        // 000000005E34: D1D30374 05D2B358
	v_max3_f32 v116, |v90|, |v91|, v116                        // 000000005E3C: D1D30374 05D2B75A
	ds_write_b32 v120, v116                                    // 000000005E44: D81A0000 00007478
	s_waitcnt lgkmcnt(0)                                       // 000000005E4C: BF8CC07F
	s_barrier                                                  // 000000005E50: BF8A0000
	ds_read_b32 v4, v121                                       // 000000005E54: D86C0000 04000079
	ds_read_b32 v5, v121 offset:64                             // 000000005E5C: D86C0040 05000079
	ds_read_b32 v6, v121 offset:128                            // 000000005E64: D86C0080 06000079
	ds_read_b32 v7, v121 offset:192                            // 000000005E6C: D86C00C0 07000079
	ds_read_b32 v8, v121 offset:256                            // 000000005E74: D86C0100 08000079
	ds_read_b32 v9, v121 offset:320                            // 000000005E7C: D86C0140 09000079
	ds_read_b32 v10, v121 offset:384                           // 000000005E84: D86C0180 0A000079
	ds_read_b32 v11, v121 offset:448                           // 000000005E8C: D86C01C0 0B000079
	ds_read_b32 v12, v121 offset:512                           // 000000005E94: D86C0200 0C000079
	ds_read_b32 v13, v121 offset:576                           // 000000005E9C: D86C0240 0D000079
	ds_read_b32 v14, v121 offset:640                           // 000000005EA4: D86C0280 0E000079
	ds_read_b32 v15, v121 offset:704                           // 000000005EAC: D86C02C0 0F000079
	ds_read_b32 v16, v121 offset:768                           // 000000005EB4: D86C0300 10000079
	ds_read_b32 v17, v121 offset:832                           // 000000005EBC: D86C0340 11000079
	ds_read_b32 v18, v121 offset:896                           // 000000005EC4: D86C0380 12000079
	ds_read_b32 v19, v121 offset:960                           // 000000005ECC: D86C03C0 13000079
	s_waitcnt lgkmcnt(0)                                       // 000000005ED4: BF8CC07F
	s_barrier                                                  // 000000005ED8: BF8A0000
	v_max3_f32 v116, |v4|, |v5|, v116                          // 000000005EDC: D1D30374 05D20B04
	v_max3_f32 v116, |v6|, |v7|, v116                          // 000000005EE4: D1D30374 05D20F06
	v_max3_f32 v116, |v8|, |v9|, v116                          // 000000005EEC: D1D30374 05D21308
	v_max3_f32 v116, |v10|, |v11|, v116                        // 000000005EF4: D1D30374 05D2170A
	v_max3_f32 v116, |v12|, |v13|, v116                        // 000000005EFC: D1D30374 05D21B0C
	v_max3_f32 v116, |v14|, |v15|, v116                        // 000000005F04: D1D30374 05D21F0E
	v_max3_f32 v116, |v16|, |v17|, v116                        // 000000005F0C: D1D30374 05D22310
	v_max3_f32 v116, |v18|, |v19|, v116                        // 000000005F14: D1D30374 05D22712
	v_rcp_f32_e32 v116, v116                                   // 000000005F1C: 7EE84574
	v_mov_b32_e32 v4, 0x43700000                               // 000000005F20: 7E0802FF 43700000
	v_mul_f32_e32 v116, v4, v116                               // 000000005F28: 0AE8E904
	v_mov_b32_e32 v4, v116                                     // 000000005F2C: 7E080374
	v_mov_b32_e32 v5, v4                                       // 000000005F30: 7E0A0304
	v_pk_mul_f32 v[80:81], v[4:5], v[80:81]                    // 000000005F34: D3B14050 1802A104
	v_pk_mul_f32 v[82:83], v[4:5], v[82:83]                    // 000000005F3C: D3B14052 1802A504
	v_cvt_pk_fp8_f32 v80, v80, v81                             // 000000005F44: D2A20050 0002A350
	v_cvt_pk_fp8_f32 v80, v82, v83 op_sel:[0,0,1]              // 000000005F4C: D2A24050 0002A752
	v_pk_mul_f32 v[88:89], v[4:5], v[88:89]                    // 000000005F54: D3B14058 1802B104
	v_pk_mul_f32 v[90:91], v[4:5], v[90:91]                    // 000000005F5C: D3B1405A 1802B504
	v_cvt_pk_fp8_f32 v88, v88, v89                             // 000000005F64: D2A20058 0002B358
	v_cvt_pk_fp8_f32 v88, v90, v91 op_sel:[0,0,1]              // 000000005F6C: D2A24058 0002B75A
	v_rcp_f32_e32 v116, v116                                   // 000000005F74: 7EE84574
	v_mov_b32_e32 v118, 0x358637bd                             // 000000005F78: 7EEC02FF 358637BD
	v_max3_f32 v118, |v96|, |v97|, v118                        // 000000005F80: D1D30376 05DAC360
	v_max3_f32 v118, |v98|, |v99|, v118                        // 000000005F88: D1D30376 05DAC762
	v_max3_f32 v118, |v104|, |v105|, v118                      // 000000005F90: D1D30376 05DAD368
	v_max3_f32 v118, |v106|, |v107|, v118                      // 000000005F98: D1D30376 05DAD76A
	ds_write_b32 v120, v118                                    // 000000005FA0: D81A0000 00007678
	s_waitcnt lgkmcnt(0)                                       // 000000005FA8: BF8CC07F
	s_barrier                                                  // 000000005FAC: BF8A0000
	ds_read_b32 v4, v121                                       // 000000005FB0: D86C0000 04000079
	ds_read_b32 v5, v121 offset:64                             // 000000005FB8: D86C0040 05000079
	ds_read_b32 v6, v121 offset:128                            // 000000005FC0: D86C0080 06000079
	ds_read_b32 v7, v121 offset:192                            // 000000005FC8: D86C00C0 07000079
	ds_read_b32 v8, v121 offset:256                            // 000000005FD0: D86C0100 08000079
	ds_read_b32 v9, v121 offset:320                            // 000000005FD8: D86C0140 09000079
	ds_read_b32 v10, v121 offset:384                           // 000000005FE0: D86C0180 0A000079
	ds_read_b32 v11, v121 offset:448                           // 000000005FE8: D86C01C0 0B000079
	ds_read_b32 v12, v121 offset:512                           // 000000005FF0: D86C0200 0C000079
	ds_read_b32 v13, v121 offset:576                           // 000000005FF8: D86C0240 0D000079
	ds_read_b32 v14, v121 offset:640                           // 000000006000: D86C0280 0E000079
	ds_read_b32 v15, v121 offset:704                           // 000000006008: D86C02C0 0F000079
	ds_read_b32 v16, v121 offset:768                           // 000000006010: D86C0300 10000079
	ds_read_b32 v17, v121 offset:832                           // 000000006018: D86C0340 11000079
	ds_read_b32 v18, v121 offset:896                           // 000000006020: D86C0380 12000079
	ds_read_b32 v19, v121 offset:960                           // 000000006028: D86C03C0 13000079
	s_waitcnt lgkmcnt(0)                                       // 000000006030: BF8CC07F
	s_barrier                                                  // 000000006034: BF8A0000
	v_max3_f32 v118, |v4|, |v5|, v118                          // 000000006038: D1D30376 05DA0B04
	v_max3_f32 v118, |v6|, |v7|, v118                          // 000000006040: D1D30376 05DA0F06
	v_max3_f32 v118, |v8|, |v9|, v118                          // 000000006048: D1D30376 05DA1308
	v_max3_f32 v118, |v10|, |v11|, v118                        // 000000006050: D1D30376 05DA170A
	v_max3_f32 v118, |v12|, |v13|, v118                        // 000000006058: D1D30376 05DA1B0C
	v_max3_f32 v118, |v14|, |v15|, v118                        // 000000006060: D1D30376 05DA1F0E
	v_max3_f32 v118, |v16|, |v17|, v118                        // 000000006068: D1D30376 05DA2310
	v_max3_f32 v118, |v18|, |v19|, v118                        // 000000006070: D1D30376 05DA2712
	v_rcp_f32_e32 v118, v118                                   // 000000006078: 7EEC4576
	v_mov_b32_e32 v4, 0x43700000                               // 00000000607C: 7E0802FF 43700000
	v_mul_f32_e32 v118, v4, v118                               // 000000006084: 0AECED04
	v_mov_b32_e32 v4, v118                                     // 000000006088: 7E080376
	v_mov_b32_e32 v5, v4                                       // 00000000608C: 7E0A0304
	v_pk_mul_f32 v[96:97], v[4:5], v[96:97]                    // 000000006090: D3B14060 1802C104
	v_pk_mul_f32 v[98:99], v[4:5], v[98:99]                    // 000000006098: D3B14062 1802C504
	v_cvt_pk_fp8_f32 v96, v96, v97                             // 0000000060A0: D2A20060 0002C360
	v_cvt_pk_fp8_f32 v96, v98, v99 op_sel:[0,0,1]              // 0000000060A8: D2A24060 0002C762
	v_pk_mul_f32 v[104:105], v[4:5], v[104:105]                // 0000000060B0: D3B14068 1802D104
	v_pk_mul_f32 v[106:107], v[4:5], v[106:107]                // 0000000060B8: D3B1406A 1802D504
	v_cvt_pk_fp8_f32 v104, v104, v105                          // 0000000060C0: D2A20068 0002D368
	v_cvt_pk_fp8_f32 v104, v106, v107 op_sel:[0,0,1]           // 0000000060C8: D2A24068 0002D76A
	v_rcp_f32_e32 v118, v118                                   // 0000000060D0: 7EEC4576
	v_mov_b32_e32 v113, 0x358637bd                             // 0000000060D4: 7EE202FF 358637BD
	v_max3_f32 v113, |v52|, |v53|, v113                        // 0000000060DC: D1D30371 05C66B34
	v_max3_f32 v113, |v54|, |v55|, v113                        // 0000000060E4: D1D30371 05C66F36
	v_max3_f32 v113, |v60|, |v61|, v113                        // 0000000060EC: D1D30371 05C67B3C
	v_max3_f32 v113, |v62|, |v63|, v113                        // 0000000060F4: D1D30371 05C67F3E
	ds_write_b32 v120, v113                                    // 0000000060FC: D81A0000 00007178
	s_waitcnt lgkmcnt(0)                                       // 000000006104: BF8CC07F
	s_barrier                                                  // 000000006108: BF8A0000
	ds_read_b32 v4, v121                                       // 00000000610C: D86C0000 04000079
	ds_read_b32 v5, v121 offset:64                             // 000000006114: D86C0040 05000079
	ds_read_b32 v6, v121 offset:128                            // 00000000611C: D86C0080 06000079
	ds_read_b32 v7, v121 offset:192                            // 000000006124: D86C00C0 07000079
	ds_read_b32 v8, v121 offset:256                            // 00000000612C: D86C0100 08000079
	ds_read_b32 v9, v121 offset:320                            // 000000006134: D86C0140 09000079
	ds_read_b32 v10, v121 offset:384                           // 00000000613C: D86C0180 0A000079
	ds_read_b32 v11, v121 offset:448                           // 000000006144: D86C01C0 0B000079
	ds_read_b32 v12, v121 offset:512                           // 00000000614C: D86C0200 0C000079
	ds_read_b32 v13, v121 offset:576                           // 000000006154: D86C0240 0D000079
	ds_read_b32 v14, v121 offset:640                           // 00000000615C: D86C0280 0E000079
	ds_read_b32 v15, v121 offset:704                           // 000000006164: D86C02C0 0F000079
	ds_read_b32 v16, v121 offset:768                           // 00000000616C: D86C0300 10000079
	ds_read_b32 v17, v121 offset:832                           // 000000006174: D86C0340 11000079
	ds_read_b32 v18, v121 offset:896                           // 00000000617C: D86C0380 12000079
	ds_read_b32 v19, v121 offset:960                           // 000000006184: D86C03C0 13000079
	s_waitcnt lgkmcnt(0)                                       // 00000000618C: BF8CC07F
	s_barrier                                                  // 000000006190: BF8A0000
	v_max3_f32 v113, |v4|, |v5|, v113                          // 000000006194: D1D30371 05C60B04
	v_max3_f32 v113, |v6|, |v7|, v113                          // 00000000619C: D1D30371 05C60F06
	v_max3_f32 v113, |v8|, |v9|, v113                          // 0000000061A4: D1D30371 05C61308
	v_max3_f32 v113, |v10|, |v11|, v113                        // 0000000061AC: D1D30371 05C6170A
	v_max3_f32 v113, |v12|, |v13|, v113                        // 0000000061B4: D1D30371 05C61B0C
	v_max3_f32 v113, |v14|, |v15|, v113                        // 0000000061BC: D1D30371 05C61F0E
	v_max3_f32 v113, |v16|, |v17|, v113                        // 0000000061C4: D1D30371 05C62310
	v_max3_f32 v113, |v18|, |v19|, v113                        // 0000000061CC: D1D30371 05C62712
	v_rcp_f32_e32 v113, v113                                   // 0000000061D4: 7EE24571
	v_mov_b32_e32 v4, 0x43700000                               // 0000000061D8: 7E0802FF 43700000
	v_mul_f32_e32 v113, v4, v113                               // 0000000061E0: 0AE2E304
	v_mov_b32_e32 v4, v113                                     // 0000000061E4: 7E080371
	v_mov_b32_e32 v5, v4                                       // 0000000061E8: 7E0A0304
	v_pk_mul_f32 v[52:53], v[4:5], v[52:53]                    // 0000000061EC: D3B14034 18026904
	v_pk_mul_f32 v[54:55], v[4:5], v[54:55]                    // 0000000061F4: D3B14036 18026D04
	v_cvt_pk_fp8_f32 v52, v52, v53                             // 0000000061FC: D2A20034 00026B34
	v_cvt_pk_fp8_f32 v52, v54, v55 op_sel:[0,0,1]              // 000000006204: D2A24034 00026F36
	v_pk_mul_f32 v[60:61], v[4:5], v[60:61]                    // 00000000620C: D3B1403C 18027904
	v_pk_mul_f32 v[62:63], v[4:5], v[62:63]                    // 000000006214: D3B1403E 18027D04
	v_cvt_pk_fp8_f32 v60, v60, v61                             // 00000000621C: D2A2003C 00027B3C
	v_cvt_pk_fp8_f32 v60, v62, v63 op_sel:[0,0,1]              // 000000006224: D2A2403C 00027F3E
	v_rcp_f32_e32 v113, v113                                   // 00000000622C: 7EE24571
	v_mov_b32_e32 v115, 0x358637bd                             // 000000006230: 7EE602FF 358637BD
	v_max3_f32 v115, |v68|, |v69|, v115                        // 000000006238: D1D30373 05CE8B44
	v_max3_f32 v115, |v70|, |v71|, v115                        // 000000006240: D1D30373 05CE8F46
	v_max3_f32 v115, |v76|, |v77|, v115                        // 000000006248: D1D30373 05CE9B4C
	v_max3_f32 v115, |v78|, |v79|, v115                        // 000000006250: D1D30373 05CE9F4E
	ds_write_b32 v120, v115                                    // 000000006258: D81A0000 00007378
	s_waitcnt lgkmcnt(0)                                       // 000000006260: BF8CC07F
	s_barrier                                                  // 000000006264: BF8A0000
	ds_read_b32 v4, v121                                       // 000000006268: D86C0000 04000079
	ds_read_b32 v5, v121 offset:64                             // 000000006270: D86C0040 05000079
	ds_read_b32 v6, v121 offset:128                            // 000000006278: D86C0080 06000079
	ds_read_b32 v7, v121 offset:192                            // 000000006280: D86C00C0 07000079
	ds_read_b32 v8, v121 offset:256                            // 000000006288: D86C0100 08000079
	ds_read_b32 v9, v121 offset:320                            // 000000006290: D86C0140 09000079
	ds_read_b32 v10, v121 offset:384                           // 000000006298: D86C0180 0A000079
	ds_read_b32 v11, v121 offset:448                           // 0000000062A0: D86C01C0 0B000079
	ds_read_b32 v12, v121 offset:512                           // 0000000062A8: D86C0200 0C000079
	ds_read_b32 v13, v121 offset:576                           // 0000000062B0: D86C0240 0D000079
	ds_read_b32 v14, v121 offset:640                           // 0000000062B8: D86C0280 0E000079
	ds_read_b32 v15, v121 offset:704                           // 0000000062C0: D86C02C0 0F000079
	ds_read_b32 v16, v121 offset:768                           // 0000000062C8: D86C0300 10000079
	ds_read_b32 v17, v121 offset:832                           // 0000000062D0: D86C0340 11000079
	ds_read_b32 v18, v121 offset:896                           // 0000000062D8: D86C0380 12000079
	ds_read_b32 v19, v121 offset:960                           // 0000000062E0: D86C03C0 13000079
	s_waitcnt lgkmcnt(0)                                       // 0000000062E8: BF8CC07F
	s_barrier                                                  // 0000000062EC: BF8A0000
	v_max3_f32 v115, |v4|, |v5|, v115                          // 0000000062F0: D1D30373 05CE0B04
	v_max3_f32 v115, |v6|, |v7|, v115                          // 0000000062F8: D1D30373 05CE0F06
	v_max3_f32 v115, |v8|, |v9|, v115                          // 000000006300: D1D30373 05CE1308
	v_max3_f32 v115, |v10|, |v11|, v115                        // 000000006308: D1D30373 05CE170A
	v_max3_f32 v115, |v12|, |v13|, v115                        // 000000006310: D1D30373 05CE1B0C
	v_max3_f32 v115, |v14|, |v15|, v115                        // 000000006318: D1D30373 05CE1F0E
	v_max3_f32 v115, |v16|, |v17|, v115                        // 000000006320: D1D30373 05CE2310
	v_max3_f32 v115, |v18|, |v19|, v115                        // 000000006328: D1D30373 05CE2712
	v_rcp_f32_e32 v115, v115                                   // 000000006330: 7EE64573
	v_mov_b32_e32 v4, 0x43700000                               // 000000006334: 7E0802FF 43700000
	v_mul_f32_e32 v115, v4, v115                               // 00000000633C: 0AE6E704
	v_mov_b32_e32 v4, v115                                     // 000000006340: 7E080373
	v_mov_b32_e32 v5, v4                                       // 000000006344: 7E0A0304
	v_pk_mul_f32 v[68:69], v[4:5], v[68:69]                    // 000000006348: D3B14044 18028904
	v_pk_mul_f32 v[70:71], v[4:5], v[70:71]                    // 000000006350: D3B14046 18028D04
	v_cvt_pk_fp8_f32 v68, v68, v69                             // 000000006358: D2A20044 00028B44
	v_cvt_pk_fp8_f32 v68, v70, v71 op_sel:[0,0,1]              // 000000006360: D2A24044 00028F46
	v_pk_mul_f32 v[76:77], v[4:5], v[76:77]                    // 000000006368: D3B1404C 18029904
	v_pk_mul_f32 v[78:79], v[4:5], v[78:79]                    // 000000006370: D3B1404E 18029D04
	v_cvt_pk_fp8_f32 v76, v76, v77                             // 000000006378: D2A2004C 00029B4C
	v_cvt_pk_fp8_f32 v76, v78, v79 op_sel:[0,0,1]              // 000000006380: D2A2404C 00029F4E
	v_rcp_f32_e32 v115, v115                                   // 000000006388: 7EE64573
	v_mov_b32_e32 v117, 0x358637bd                             // 00000000638C: 7EEA02FF 358637BD
	v_max3_f32 v117, |v84|, |v85|, v117                        // 000000006394: D1D30375 05D6AB54
	v_max3_f32 v117, |v86|, |v87|, v117                        // 00000000639C: D1D30375 05D6AF56
	v_max3_f32 v117, |v92|, |v93|, v117                        // 0000000063A4: D1D30375 05D6BB5C
	v_max3_f32 v117, |v94|, |v95|, v117                        // 0000000063AC: D1D30375 05D6BF5E
	ds_write_b32 v120, v117                                    // 0000000063B4: D81A0000 00007578
	s_waitcnt lgkmcnt(0)                                       // 0000000063BC: BF8CC07F
	s_barrier                                                  // 0000000063C0: BF8A0000
	ds_read_b32 v4, v121                                       // 0000000063C4: D86C0000 04000079
	ds_read_b32 v5, v121 offset:64                             // 0000000063CC: D86C0040 05000079
	ds_read_b32 v6, v121 offset:128                            // 0000000063D4: D86C0080 06000079
	ds_read_b32 v7, v121 offset:192                            // 0000000063DC: D86C00C0 07000079
	ds_read_b32 v8, v121 offset:256                            // 0000000063E4: D86C0100 08000079
	ds_read_b32 v9, v121 offset:320                            // 0000000063EC: D86C0140 09000079
	ds_read_b32 v10, v121 offset:384                           // 0000000063F4: D86C0180 0A000079
	ds_read_b32 v11, v121 offset:448                           // 0000000063FC: D86C01C0 0B000079
	ds_read_b32 v12, v121 offset:512                           // 000000006404: D86C0200 0C000079
	ds_read_b32 v13, v121 offset:576                           // 00000000640C: D86C0240 0D000079
	ds_read_b32 v14, v121 offset:640                           // 000000006414: D86C0280 0E000079
	ds_read_b32 v15, v121 offset:704                           // 00000000641C: D86C02C0 0F000079
	ds_read_b32 v16, v121 offset:768                           // 000000006424: D86C0300 10000079
	ds_read_b32 v17, v121 offset:832                           // 00000000642C: D86C0340 11000079
	ds_read_b32 v18, v121 offset:896                           // 000000006434: D86C0380 12000079
	ds_read_b32 v19, v121 offset:960                           // 00000000643C: D86C03C0 13000079
	s_waitcnt lgkmcnt(0)                                       // 000000006444: BF8CC07F
	s_barrier                                                  // 000000006448: BF8A0000
	v_max3_f32 v117, |v4|, |v5|, v117                          // 00000000644C: D1D30375 05D60B04
	v_max3_f32 v117, |v6|, |v7|, v117                          // 000000006454: D1D30375 05D60F06
	v_max3_f32 v117, |v8|, |v9|, v117                          // 00000000645C: D1D30375 05D61308
	v_max3_f32 v117, |v10|, |v11|, v117                        // 000000006464: D1D30375 05D6170A
	v_max3_f32 v117, |v12|, |v13|, v117                        // 00000000646C: D1D30375 05D61B0C
	v_max3_f32 v117, |v14|, |v15|, v117                        // 000000006474: D1D30375 05D61F0E
	v_max3_f32 v117, |v16|, |v17|, v117                        // 00000000647C: D1D30375 05D62310
	v_max3_f32 v117, |v18|, |v19|, v117                        // 000000006484: D1D30375 05D62712
	v_rcp_f32_e32 v117, v117                                   // 00000000648C: 7EEA4575
	v_mov_b32_e32 v4, 0x43700000                               // 000000006490: 7E0802FF 43700000
	v_mul_f32_e32 v117, v4, v117                               // 000000006498: 0AEAEB04
	v_mov_b32_e32 v4, v117                                     // 00000000649C: 7E080375
	v_mov_b32_e32 v5, v4                                       // 0000000064A0: 7E0A0304
	v_pk_mul_f32 v[84:85], v[4:5], v[84:85]                    // 0000000064A4: D3B14054 1802A904
	v_pk_mul_f32 v[86:87], v[4:5], v[86:87]                    // 0000000064AC: D3B14056 1802AD04
	v_cvt_pk_fp8_f32 v84, v84, v85                             // 0000000064B4: D2A20054 0002AB54
	v_cvt_pk_fp8_f32 v84, v86, v87 op_sel:[0,0,1]              // 0000000064BC: D2A24054 0002AF56
	v_pk_mul_f32 v[92:93], v[4:5], v[92:93]                    // 0000000064C4: D3B1405C 1802B904
	v_pk_mul_f32 v[94:95], v[4:5], v[94:95]                    // 0000000064CC: D3B1405E 1802BD04
	v_cvt_pk_fp8_f32 v92, v92, v93                             // 0000000064D4: D2A2005C 0002BB5C
	v_cvt_pk_fp8_f32 v92, v94, v95 op_sel:[0,0,1]              // 0000000064DC: D2A2405C 0002BF5E
	v_rcp_f32_e32 v117, v117                                   // 0000000064E4: 7EEA4575
	v_mov_b32_e32 v119, 0x358637bd                             // 0000000064E8: 7EEE02FF 358637BD
	v_max3_f32 v119, |v100|, |v101|, v119                      // 0000000064F0: D1D30377 05DECB64
	v_max3_f32 v119, |v102|, |v103|, v119                      // 0000000064F8: D1D30377 05DECF66
	v_max3_f32 v119, |v108|, |v109|, v119                      // 000000006500: D1D30377 05DEDB6C
	v_max3_f32 v119, |v110|, |v111|, v119                      // 000000006508: D1D30377 05DEDF6E
	ds_write_b32 v120, v119                                    // 000000006510: D81A0000 00007778
	s_waitcnt lgkmcnt(0)                                       // 000000006518: BF8CC07F
	s_barrier                                                  // 00000000651C: BF8A0000
	ds_read_b32 v4, v121                                       // 000000006520: D86C0000 04000079
	ds_read_b32 v5, v121 offset:64                             // 000000006528: D86C0040 05000079
	ds_read_b32 v6, v121 offset:128                            // 000000006530: D86C0080 06000079
	ds_read_b32 v7, v121 offset:192                            // 000000006538: D86C00C0 07000079
	ds_read_b32 v8, v121 offset:256                            // 000000006540: D86C0100 08000079
	ds_read_b32 v9, v121 offset:320                            // 000000006548: D86C0140 09000079
	ds_read_b32 v10, v121 offset:384                           // 000000006550: D86C0180 0A000079
	ds_read_b32 v11, v121 offset:448                           // 000000006558: D86C01C0 0B000079
	ds_read_b32 v12, v121 offset:512                           // 000000006560: D86C0200 0C000079
	ds_read_b32 v13, v121 offset:576                           // 000000006568: D86C0240 0D000079
	ds_read_b32 v14, v121 offset:640                           // 000000006570: D86C0280 0E000079
	ds_read_b32 v15, v121 offset:704                           // 000000006578: D86C02C0 0F000079
	ds_read_b32 v16, v121 offset:768                           // 000000006580: D86C0300 10000079
	ds_read_b32 v17, v121 offset:832                           // 000000006588: D86C0340 11000079
	ds_read_b32 v18, v121 offset:896                           // 000000006590: D86C0380 12000079
	ds_read_b32 v19, v121 offset:960                           // 000000006598: D86C03C0 13000079
	s_waitcnt lgkmcnt(0)                                       // 0000000065A0: BF8CC07F
	s_barrier                                                  // 0000000065A4: BF8A0000
	v_max3_f32 v119, |v4|, |v5|, v119                          // 0000000065A8: D1D30377 05DE0B04
	v_max3_f32 v119, |v6|, |v7|, v119                          // 0000000065B0: D1D30377 05DE0F06
	v_max3_f32 v119, |v8|, |v9|, v119                          // 0000000065B8: D1D30377 05DE1308
	v_max3_f32 v119, |v10|, |v11|, v119                        // 0000000065C0: D1D30377 05DE170A
	v_max3_f32 v119, |v12|, |v13|, v119                        // 0000000065C8: D1D30377 05DE1B0C
	v_max3_f32 v119, |v14|, |v15|, v119                        // 0000000065D0: D1D30377 05DE1F0E
	v_max3_f32 v119, |v16|, |v17|, v119                        // 0000000065D8: D1D30377 05DE2310
	v_max3_f32 v119, |v18|, |v19|, v119                        // 0000000065E0: D1D30377 05DE2712
	v_rcp_f32_e32 v119, v119                                   // 0000000065E8: 7EEE4577
	v_mov_b32_e32 v4, 0x43700000                               // 0000000065EC: 7E0802FF 43700000
	v_mul_f32_e32 v119, v4, v119                               // 0000000065F4: 0AEEEF04
	v_mov_b32_e32 v4, v119                                     // 0000000065F8: 7E080377
	v_mov_b32_e32 v5, v4                                       // 0000000065FC: 7E0A0304
	v_pk_mul_f32 v[100:101], v[4:5], v[100:101]                // 000000006600: D3B14064 1802C904
	v_pk_mul_f32 v[102:103], v[4:5], v[102:103]                // 000000006608: D3B14066 1802CD04
	v_cvt_pk_fp8_f32 v100, v100, v101                          // 000000006610: D2A20064 0002CB64
	v_cvt_pk_fp8_f32 v100, v102, v103 op_sel:[0,0,1]           // 000000006618: D2A24064 0002CF66
	v_pk_mul_f32 v[108:109], v[4:5], v[108:109]                // 000000006620: D3B1406C 1802D904
	v_pk_mul_f32 v[110:111], v[4:5], v[110:111]                // 000000006628: D3B1406E 1802DD04
	v_cvt_pk_fp8_f32 v108, v108, v109                          // 000000006630: D2A2006C 0002DB6C
	v_cvt_pk_fp8_f32 v108, v110, v111 op_sel:[0,0,1]           // 000000006638: D2A2406C 0002DF6E
	v_rcp_f32_e32 v119, v119                                   // 000000006640: 7EEE4577
	v_lshrrev_b32_e32 v4, 5, v0                                // 000000006644: 20080085
	v_mul_lo_u32 v20, 34, v4                                   // 000000006648: D2850014 000208A2
	v_and_b32_e32 v4, 31, v0                                   // 000000006650: 2608009F
	v_lshrrev_b32_e32 v5, 4, v4                                // 000000006654: 200A0884
	v_add_u32_e32 v20, v5, v20                                 // 000000006658: 68282905
	v_and_b32_e32 v4, 15, v0                                   // 00000000665C: 2608008F
	v_mul_lo_u32 v5, 2, v4                                     // 000000006660: D2850005 00020882
	v_add_u32_e32 v20, v5, v20                                 // 000000006668: 68282905
	s_mul_i32 s60, s7, 0x44                                    // 00000000666C: 923CFF07 00000044
	v_add_u32_e32 v20, s60, v20                                // 000000006674: 6828283C
	v_lshlrev_b32_e32 v20, 2, v20                              // 000000006678: 24282882
	ds_write_b32 v20, v48                                      // 00000000667C: D81A0000 00003014
	ds_write_b32 v20, v52 offset:8704                          // 000000006684: D81A2200 00003414
	ds_write_b32 v20, v56 offset:1088                          // 00000000668C: D81A0440 00003814
	ds_write_b32 v20, v60 offset:9792                          // 000000006694: D81A2640 00003C14
	ds_write_b32 v20, v64 offset:2176                          // 00000000669C: D81A0880 00004014
	ds_write_b32 v20, v68 offset:10880                         // 0000000066A4: D81A2A80 00004414
	ds_write_b32 v20, v72 offset:3264                          // 0000000066AC: D81A0CC0 00004814
	ds_write_b32 v20, v76 offset:11968                         // 0000000066B4: D81A2EC0 00004C14
	ds_write_b32 v20, v80 offset:4352                          // 0000000066BC: D81A1100 00005014
	ds_write_b32 v20, v84 offset:13056                         // 0000000066C4: D81A3300 00005414
	ds_write_b32 v20, v88 offset:5440                          // 0000000066CC: D81A1540 00005814
	ds_write_b32 v20, v92 offset:14144                         // 0000000066D4: D81A3740 00005C14
	ds_write_b32 v20, v96 offset:6528                          // 0000000066DC: D81A1980 00006014
	ds_write_b32 v20, v100 offset:15232                        // 0000000066E4: D81A3B80 00006414
	ds_write_b32 v20, v104 offset:7616                         // 0000000066EC: D81A1DC0 00006814
	ds_write_b32 v20, v108 offset:16320                        // 0000000066F4: D81A3FC0 00006C14
	v_lshrrev_b32_e32 v4, 5, v0                                // 0000000066FC: 20080085
	v_xor_b32_e32 v5, 1, v4                                    // 000000006700: 2A0A0881
	s_mul_i32 s60, s65, 1                                      // 000000006704: 923C8141
	s_cmp_eq_u32 s88, 0                                        // 000000006708: BF068058
	s_cselect_b32 s61, 1, 8                                    // 00000000670C: 853D8881
	s_mul_i32 s60, s61, s60                                    // 000000006710: 923C3C3D
	v_readlane_b32 s82, v3, 0                                  // 000000006714: D2890052 00010103
	s_lshr_b32 s61, s82, 24                                    // 00000000671C: 8F3D9852
	s_and_b32 s82, s82, 0xffffff                               // 000000006720: 8652FF52 00FFFFFF
	s_mul_i32 s82, s82, s71                                    // 000000006728: 92524752
	s_mul_i32 s61, s60, s61                                    // 00000000672C: 923D3D3C
	s_add_u32 s82, s82, s61                                    // 000000006730: 80523D52
	v_mul_lo_u32 v6, v5, s82                                   // 000000006734: D2850006 0000A505
	v_readlane_b32 s82, v3, 1                                  // 00000000673C: D2890052 00010303
	s_lshr_b32 s61, s82, 24                                    // 000000006744: 8F3D9852
	s_and_b32 s82, s82, 0xffffff                               // 000000006748: 8652FF52 00FFFFFF
	s_mul_i32 s82, s82, s71                                    // 000000006750: 92524752
	s_mul_i32 s61, s60, s61                                    // 000000006754: 923D3D3C
	s_add_u32 s82, s82, s61                                    // 000000006758: 80523D52
	v_mul_lo_u32 v7, v4, s82                                   // 00000000675C: D2850007 0000A504
	v_add_u32_e32 v36, v6, v7                                  // 000000006764: 68480F06
	v_readlane_b32 s82, v3, 2                                  // 000000006768: D2890052 00010503
	s_lshr_b32 s61, s82, 24                                    // 000000006770: 8F3D9852
	s_and_b32 s82, s82, 0xffffff                               // 000000006774: 8652FF52 00FFFFFF
	s_mul_i32 s82, s82, s71                                    // 00000000677C: 92524752
	s_mul_i32 s61, s60, s61                                    // 000000006780: 923D3D3C
	s_add_u32 s82, s82, s61                                    // 000000006784: 80523D52
	v_mul_lo_u32 v6, v5, s82                                   // 000000006788: D2850006 0000A505
	v_readlane_b32 s82, v3, 3                                  // 000000006790: D2890052 00010703
	s_lshr_b32 s61, s82, 24                                    // 000000006798: 8F3D9852
	s_and_b32 s82, s82, 0xffffff                               // 00000000679C: 8652FF52 00FFFFFF
	s_mul_i32 s82, s82, s71                                    // 0000000067A4: 92524752
	s_mul_i32 s61, s60, s61                                    // 0000000067A8: 923D3D3C
	s_add_u32 s82, s82, s61                                    // 0000000067AC: 80523D52
	v_mul_lo_u32 v7, v4, s82                                   // 0000000067B0: D2850007 0000A504
	v_add_u32_e32 v37, v6, v7                                  // 0000000067B8: 684A0F06
	v_readlane_b32 s82, v3, 4                                  // 0000000067BC: D2890052 00010903
	s_lshr_b32 s61, s82, 24                                    // 0000000067C4: 8F3D9852
	s_and_b32 s82, s82, 0xffffff                               // 0000000067C8: 8652FF52 00FFFFFF
	s_mul_i32 s82, s82, s71                                    // 0000000067D0: 92524752
	s_mul_i32 s61, s60, s61                                    // 0000000067D4: 923D3D3C
	s_add_u32 s82, s82, s61                                    // 0000000067D8: 80523D52
	v_mul_lo_u32 v6, v5, s82                                   // 0000000067DC: D2850006 0000A505
	v_readlane_b32 s82, v3, 5                                  // 0000000067E4: D2890052 00010B03
	s_lshr_b32 s61, s82, 24                                    // 0000000067EC: 8F3D9852
	s_and_b32 s82, s82, 0xffffff                               // 0000000067F0: 8652FF52 00FFFFFF
	s_mul_i32 s82, s82, s71                                    // 0000000067F8: 92524752
	s_mul_i32 s61, s60, s61                                    // 0000000067FC: 923D3D3C
	s_add_u32 s82, s82, s61                                    // 000000006800: 80523D52
	v_mul_lo_u32 v7, v4, s82                                   // 000000006804: D2850007 0000A504
	v_add_u32_e32 v38, v6, v7                                  // 00000000680C: 684C0F06
	v_readlane_b32 s82, v3, 6                                  // 000000006810: D2890052 00010D03
	s_lshr_b32 s61, s82, 24                                    // 000000006818: 8F3D9852
	s_and_b32 s82, s82, 0xffffff                               // 00000000681C: 8652FF52 00FFFFFF
	s_mul_i32 s82, s82, s71                                    // 000000006824: 92524752
	s_mul_i32 s61, s60, s61                                    // 000000006828: 923D3D3C
	s_add_u32 s82, s82, s61                                    // 00000000682C: 80523D52
	v_mul_lo_u32 v6, v5, s82                                   // 000000006830: D2850006 0000A505
	v_readlane_b32 s82, v3, 7                                  // 000000006838: D2890052 00010F03
	s_lshr_b32 s61, s82, 24                                    // 000000006840: 8F3D9852
	s_and_b32 s82, s82, 0xffffff                               // 000000006844: 8652FF52 00FFFFFF
	s_mul_i32 s82, s82, s71                                    // 00000000684C: 92524752
	s_mul_i32 s61, s60, s61                                    // 000000006850: 923D3D3C
	s_add_u32 s82, s82, s61                                    // 000000006854: 80523D52
	v_mul_lo_u32 v7, v4, s82                                   // 000000006858: D2850007 0000A504
	v_add_u32_e32 v39, v6, v7                                  // 000000006860: 684E0F06
	v_and_b32_e32 v4, 31, v0                                   // 000000006864: 2608009F
	v_lshrrev_b32_e32 v4, 1, v4                                // 000000006868: 20080881
	s_cmp_eq_u32 s88, 0                                        // 00000000686C: BF068058
	s_cselect_b32 s61, 2, 4                                    // 000000006870: 853D8482
	v_mul_lo_u32 v4, v4, s61                                   // 000000006874: D2850004 00007B04
	v_and_b32_e64 v5, v0, 1                                    // 00000000687C: D1130005 00010300
	v_add_u32_e32 v4, v4, v5                                   // 000000006884: 68080B04
	v_lshlrev_b32_e32 v4, 2, v4                                // 000000006888: 24080882
	v_add_u32_e32 v36, v36, v4                                 // 00000000688C: 68480924
	v_add_u32_e32 v37, v37, v4                                 // 000000006890: 684A0925
	v_add_u32_e32 v38, v38, v4                                 // 000000006894: 684C0926
	v_add_u32_e32 v39, v39, v4                                 // 000000006898: 684E0927
	s_waitcnt lgkmcnt(0)                                       // 00000000689C: BF8CC07F
	s_barrier                                                  // 0000000068A0: BF8A0000
	ds_read_b32 v48, v21                                       // 0000000068A4: D86C0000 30000015
	ds_read_b32 v49, v21 offset:64                             // 0000000068AC: D86C0040 31000015
	ds_read_b32 v50, v21 offset:2176                           // 0000000068B4: D86C0880 32000015
	ds_read_b32 v51, v21 offset:2240                           // 0000000068BC: D86C08C0 33000015
	ds_read_b32 v52, v21 offset:4352                           // 0000000068C4: D86C1100 34000015
	ds_read_b32 v53, v21 offset:4416                           // 0000000068CC: D86C1140 35000015
	ds_read_b32 v54, v21 offset:6528                           // 0000000068D4: D86C1980 36000015
	ds_read_b32 v55, v21 offset:6592                           // 0000000068DC: D86C19C0 37000015
	ds_read_b32 v56, v21 offset:8704                           // 0000000068E4: D86C2200 38000015
	ds_read_b32 v57, v21 offset:8768                           // 0000000068EC: D86C2240 39000015
	ds_read_b32 v58, v21 offset:10880                          // 0000000068F4: D86C2A80 3A000015
	ds_read_b32 v59, v21 offset:10944                          // 0000000068FC: D86C2AC0 3B000015
	ds_read_b32 v60, v21 offset:13056                          // 000000006904: D86C3300 3C000015
	ds_read_b32 v61, v21 offset:13120                          // 00000000690C: D86C3340 3D000015
	ds_read_b32 v62, v21 offset:15232                          // 000000006914: D86C3B80 3E000015
	ds_read_b32 v63, v21 offset:15296                          // 00000000691C: D86C3BC0 3F000015
	s_waitcnt lgkmcnt(0)                                       // 000000006924: BF8CC07F
	s_mov_b32 s36, -1                                          // 000000006928: BEA400C1
	s_mov_b32 s37, -1                                          // 00000000692C: BEA500C1
	v_mov_b32_e32 v7, 0                                        // 000000006930: 7E0E0280
	s_or_b32 s9, s9, 0x40000                                   // 000000006934: 8709FF09 00040000
	s_mov_b64 exec, s[36:37]                                   // 00000000693C: BEFE0124
	v_mov_b32_e32 v6, v36                                      // 000000006940: 7E0C0324
	s_mov_b64 s[60:61], 0                                      // 000000006944: BEBC0180
	v_readlane_b32 s82, v3, 0                                  // 000000006948: D2890052 00010103
	s_and_b32 s82, s82, 0xffffff                               // 000000006950: 8652FF52 00FFFFFF
	s_cmp_lt_u32 s82, s66                                      // 000000006958: BF0A4252
	s_cselect_b32 s20, s36, s60                                // 00000000695C: 85143C24
	v_readlane_b32 s82, v3, 1                                  // 000000006960: D2890052 00010303
	s_and_b32 s82, s82, 0xffffff                               // 000000006968: 8652FF52 00FFFFFF
	s_cmp_lt_u32 s82, s66                                      // 000000006970: BF0A4252
	s_cselect_b32 s21, s36, s60                                // 000000006974: 85153C24
	s_mov_b64 exec, s[20:21]                                   // 000000006978: BEFE0114
	buffer_store_dword v48, v6, s[8:11], 0 offen               // 00000000697C: E0701000 80023006
	buffer_store_dword v50, v6, s[8:11], 0 offen offset:128    // 000000006984: E0701080 80023206
	buffer_store_dword v52, v6, s[8:11], 0 offen offset:256    // 00000000698C: E0701100 80023406
	buffer_store_dword v54, v6, s[8:11], 0 offen offset:384    // 000000006994: E0701180 80023606
	s_mov_b64 exec, s[36:37]                                   // 00000000699C: BEFE0124
	v_mov_b32_e32 v6, v37                                      // 0000000069A0: 7E0C0325
	s_mov_b64 s[60:61], 0                                      // 0000000069A4: BEBC0180
	v_readlane_b32 s82, v3, 2                                  // 0000000069A8: D2890052 00010503
	s_and_b32 s82, s82, 0xffffff                               // 0000000069B0: 8652FF52 00FFFFFF
	s_cmp_lt_u32 s82, s66                                      // 0000000069B8: BF0A4252
	s_cselect_b32 s20, s36, s60                                // 0000000069BC: 85143C24
	v_readlane_b32 s82, v3, 3                                  // 0000000069C0: D2890052 00010703
	s_and_b32 s82, s82, 0xffffff                               // 0000000069C8: 8652FF52 00FFFFFF
	s_cmp_lt_u32 s82, s66                                      // 0000000069D0: BF0A4252
	s_cselect_b32 s21, s36, s60                                // 0000000069D4: 85153C24
	s_mov_b64 exec, s[20:21]                                   // 0000000069D8: BEFE0114
	buffer_store_dword v49, v6, s[8:11], 0 offen               // 0000000069DC: E0701000 80023106
	buffer_store_dword v51, v6, s[8:11], 0 offen offset:128    // 0000000069E4: E0701080 80023306
	buffer_store_dword v53, v6, s[8:11], 0 offen offset:256    // 0000000069EC: E0701100 80023506
	buffer_store_dword v55, v6, s[8:11], 0 offen offset:384    // 0000000069F4: E0701180 80023706
	s_mov_b64 exec, s[36:37]                                   // 0000000069FC: BEFE0124
	v_mov_b32_e32 v6, v38                                      // 000000006A00: 7E0C0326
	s_mov_b64 s[60:61], 0                                      // 000000006A04: BEBC0180
	v_readlane_b32 s82, v3, 4                                  // 000000006A08: D2890052 00010903
	s_and_b32 s82, s82, 0xffffff                               // 000000006A10: 8652FF52 00FFFFFF
	s_cmp_lt_u32 s82, s66                                      // 000000006A18: BF0A4252
	s_cselect_b32 s20, s36, s60                                // 000000006A1C: 85143C24
	v_readlane_b32 s82, v3, 5                                  // 000000006A20: D2890052 00010B03
	s_and_b32 s82, s82, 0xffffff                               // 000000006A28: 8652FF52 00FFFFFF
	s_cmp_lt_u32 s82, s66                                      // 000000006A30: BF0A4252
	s_cselect_b32 s21, s36, s60                                // 000000006A34: 85153C24
	s_mov_b64 exec, s[20:21]                                   // 000000006A38: BEFE0114
	buffer_store_dword v56, v6, s[8:11], 0 offen               // 000000006A3C: E0701000 80023806
	buffer_store_dword v58, v6, s[8:11], 0 offen offset:128    // 000000006A44: E0701080 80023A06
	buffer_store_dword v60, v6, s[8:11], 0 offen offset:256    // 000000006A4C: E0701100 80023C06
	buffer_store_dword v62, v6, s[8:11], 0 offen offset:384    // 000000006A54: E0701180 80023E06
	s_mov_b64 exec, s[36:37]                                   // 000000006A5C: BEFE0124
	v_mov_b32_e32 v6, v39                                      // 000000006A60: 7E0C0327
	s_mov_b64 s[60:61], 0                                      // 000000006A64: BEBC0180
	v_readlane_b32 s82, v3, 6                                  // 000000006A68: D2890052 00010D03
	s_and_b32 s82, s82, 0xffffff                               // 000000006A70: 8652FF52 00FFFFFF
	s_cmp_lt_u32 s82, s66                                      // 000000006A78: BF0A4252
	s_cselect_b32 s20, s36, s60                                // 000000006A7C: 85143C24
	v_readlane_b32 s82, v3, 7                                  // 000000006A80: D2890052 00010F03
	s_and_b32 s82, s82, 0xffffff                               // 000000006A88: 8652FF52 00FFFFFF
	s_cmp_lt_u32 s82, s66                                      // 000000006A90: BF0A4252
	s_cselect_b32 s21, s36, s60                                // 000000006A94: 85153C24
	s_mov_b64 exec, s[20:21]                                   // 000000006A98: BEFE0114
	buffer_store_dword v57, v6, s[8:11], 0 offen               // 000000006A9C: E0701000 80023906
	buffer_store_dword v59, v6, s[8:11], 0 offen offset:128    // 000000006AA4: E0701080 80023B06
	buffer_store_dword v61, v6, s[8:11], 0 offen offset:256    // 000000006AAC: E0701100 80023D06
	buffer_store_dword v63, v6, s[8:11], 0 offen offset:384    // 000000006AB4: E0701180 80023F06
	s_mov_b64 exec, s[36:37]                                   // 000000006ABC: BEFE0124
	s_cmp_eq_u32 s7, 0                                         // 000000006AC0: BF068007
	s_cbranch_scc0 label_267C                                  // 000000006AC4: BF841647
	s_waitcnt vmcnt(16)                                        // 000000006AC8: BF8C4F70
	s_mov_b32 s8, s90                                          // 000000006ACC: BE88005A
	s_mov_b32 s9, s91                                          // 000000006AD0: BE89005B
	s_mul_i32 s60, s66, s71                                    // 000000006AD4: 923C4742
	s_add_u32 s8, s60, s8                                      // 000000006AD8: 8008083C
	s_addc_u32 s9, 0, s9                                       // 000000006ADC: 82090980
	s_lshr_b32 s71, s71, 5                                     // 000000006AE0: 8F478547
	s_mul_i32 s60, s66, s71                                    // 000000006AE4: 923C4742
	s_mov_b32 s10, s60                                         // 000000006AE8: BE8A003C
	s_lshr_b32 s61, s65, 5                                     // 000000006AEC: 8F3D8541
	s_mul_i32 s60, s2, 16                                      // 000000006AF0: 923C9002
	v_lshrrev_b32_e32 v4, 24, v28                              // 000000006AF4: 20083898
	v_mul_lo_u32 v4, s61, v4                                   // 000000006AF8: D2850004 0002083D
	v_and_b32_e32 v28, 0xffffff, v28                           // 000000006B00: 263838FF 00FFFFFF
	v_mul_lo_u32 v28, s71, v28                                 // 000000006B08: D285001C 00023847
	v_add_u32_e32 v28, v4, v28                                 // 000000006B10: 68383904
	v_add_u32_e32 v28, s60, v28                                // 000000006B14: 6838383C
	v_lshrrev_b32_e32 v4, 24, v29                              // 000000006B18: 20083A98
	v_mul_lo_u32 v4, s61, v4                                   // 000000006B1C: D2850004 0002083D
	v_and_b32_e32 v29, 0xffffff, v29                           // 000000006B24: 263A3AFF 00FFFFFF
	v_mul_lo_u32 v29, s71, v29                                 // 000000006B2C: D285001D 00023A47
	v_add_u32_e32 v29, v4, v29                                 // 000000006B34: 683A3B04
	v_add_u32_e32 v29, s60, v29                                // 000000006B38: 683A3A3C
	s_mov_b64 exec, 0xffff                                     // 000000006B3C: BEFE01FF 0000FFFF
	buffer_store_dword v112, v28, s[8:11], 0 offen             // 000000006B44: E0701000 8002701C
	buffer_store_dword v114, v28, s[8:11], 0 offen offset:4    // 000000006B4C: E0701004 8002721C
	buffer_store_dword v116, v28, s[8:11], 0 offen offset:8    // 000000006B54: E0701008 8002741C
	buffer_store_dword v118, v28, s[8:11], 0 offen offset:12   // 000000006B5C: E070100C 8002761C
	buffer_store_dword v113, v29, s[8:11], 0 offen             // 000000006B64: E0701000 8002711D
	buffer_store_dword v115, v29, s[8:11], 0 offen offset:4    // 000000006B6C: E0701004 8002731D
	buffer_store_dword v117, v29, s[8:11], 0 offen offset:8    // 000000006B74: E0701008 8002751D
	buffer_store_dword v119, v29, s[8:11], 0 offen offset:12   // 000000006B7C: E070100C 8002771D
	s_mov_b64 exec, s[36:37]                                   // 000000006B84: BEFE0124
	s_branch label_267C                                        // 000000006B88: BF821616

0000000000006b8c <label_1063>:
	ds_write_b64 v20, v[48:49]                                 // 000000006B8C: D89A0000 00003014
	ds_write_b64 v20, v[52:53] offset:17408                    // 000000006B94: D89A4400 00003414
	ds_write_b64 v20, v[56:57] offset:2176                     // 000000006B9C: D89A0880 00003814
	ds_write_b64 v20, v[60:61] offset:19584                    // 000000006BA4: D89A4C80 00003C14
	ds_write_b64 v20, v[64:65] offset:4352                     // 000000006BAC: D89A1100 00004014
	ds_write_b64 v20, v[68:69] offset:21760                    // 000000006BB4: D89A5500 00004414
	ds_write_b64 v20, v[72:73] offset:6528                     // 000000006BBC: D89A1980 00004814
	ds_write_b64 v20, v[76:77] offset:23936                    // 000000006BC4: D89A5D80 00004C14
	ds_write_b64 v20, v[80:81] offset:8704                     // 000000006BCC: D89A2200 00005014
	ds_write_b64 v20, v[84:85] offset:26112                    // 000000006BD4: D89A6600 00005414
	ds_write_b64 v20, v[88:89] offset:10880                    // 000000006BDC: D89A2A80 00005814
	ds_write_b64 v20, v[92:93] offset:28288                    // 000000006BE4: D89A6E80 00005C14
	ds_write_b64 v20, v[96:97] offset:13056                    // 000000006BEC: D89A3300 00006014
	ds_write_b64 v20, v[100:101] offset:30464                  // 000000006BF4: D89A7700 00006414
	ds_write_b64 v20, v[104:105] offset:15232                  // 000000006BFC: D89A3B80 00006814
	ds_write_b64 v20, v[108:109] offset:32640                  // 000000006C04: D89A7F80 00006C14
	v_lshrrev_b32_e32 v4, 5, v0                                // 000000006C0C: 20080085
	v_xor_b32_e32 v5, 1, v4                                    // 000000006C10: 2A0A0881
	s_mul_i32 s60, s65, 1                                      // 000000006C14: 923C8141
	s_cmp_eq_u32 s88, 0                                        // 000000006C18: BF068058
	s_cselect_b32 s61, 1, 8                                    // 000000006C1C: 853D8881
	s_mul_i32 s60, s61, s60                                    // 000000006C20: 923C3C3D
	v_readlane_b32 s82, v3, 0                                  // 000000006C24: D2890052 00010103
	s_lshr_b32 s61, s82, 24                                    // 000000006C2C: 8F3D9852
	s_and_b32 s82, s82, 0xffffff                               // 000000006C30: 8652FF52 00FFFFFF
	s_mul_i32 s82, s82, s71                                    // 000000006C38: 92524752
	s_mul_i32 s61, s60, s61                                    // 000000006C3C: 923D3D3C
	s_add_u32 s82, s82, s61                                    // 000000006C40: 80523D52
	v_mul_lo_u32 v6, v5, s82                                   // 000000006C44: D2850006 0000A505
	v_readlane_b32 s82, v3, 1                                  // 000000006C4C: D2890052 00010303
	s_lshr_b32 s61, s82, 24                                    // 000000006C54: 8F3D9852
	s_and_b32 s82, s82, 0xffffff                               // 000000006C58: 8652FF52 00FFFFFF
	s_mul_i32 s82, s82, s71                                    // 000000006C60: 92524752
	s_mul_i32 s61, s60, s61                                    // 000000006C64: 923D3D3C
	s_add_u32 s82, s82, s61                                    // 000000006C68: 80523D52
	v_mul_lo_u32 v7, v4, s82                                   // 000000006C6C: D2850007 0000A504
	v_add_u32_e32 v36, v6, v7                                  // 000000006C74: 68480F06
	v_readlane_b32 s82, v3, 2                                  // 000000006C78: D2890052 00010503
	s_lshr_b32 s61, s82, 24                                    // 000000006C80: 8F3D9852
	s_and_b32 s82, s82, 0xffffff                               // 000000006C84: 8652FF52 00FFFFFF
	s_mul_i32 s82, s82, s71                                    // 000000006C8C: 92524752
	s_mul_i32 s61, s60, s61                                    // 000000006C90: 923D3D3C
	s_add_u32 s82, s82, s61                                    // 000000006C94: 80523D52
	v_mul_lo_u32 v6, v5, s82                                   // 000000006C98: D2850006 0000A505
	v_readlane_b32 s82, v3, 3                                  // 000000006CA0: D2890052 00010703
	s_lshr_b32 s61, s82, 24                                    // 000000006CA8: 8F3D9852
	s_and_b32 s82, s82, 0xffffff                               // 000000006CAC: 8652FF52 00FFFFFF
	s_mul_i32 s82, s82, s71                                    // 000000006CB4: 92524752
	s_mul_i32 s61, s60, s61                                    // 000000006CB8: 923D3D3C
	s_add_u32 s82, s82, s61                                    // 000000006CBC: 80523D52
	v_mul_lo_u32 v7, v4, s82                                   // 000000006CC0: D2850007 0000A504
	v_add_u32_e32 v37, v6, v7                                  // 000000006CC8: 684A0F06
	v_readlane_b32 s82, v3, 4                                  // 000000006CCC: D2890052 00010903
	s_lshr_b32 s61, s82, 24                                    // 000000006CD4: 8F3D9852
	s_and_b32 s82, s82, 0xffffff                               // 000000006CD8: 8652FF52 00FFFFFF
	s_mul_i32 s82, s82, s71                                    // 000000006CE0: 92524752
	s_mul_i32 s61, s60, s61                                    // 000000006CE4: 923D3D3C
	s_add_u32 s82, s82, s61                                    // 000000006CE8: 80523D52
	v_mul_lo_u32 v6, v5, s82                                   // 000000006CEC: D2850006 0000A505
	v_readlane_b32 s82, v3, 5                                  // 000000006CF4: D2890052 00010B03
	s_lshr_b32 s61, s82, 24                                    // 000000006CFC: 8F3D9852
	s_and_b32 s82, s82, 0xffffff                               // 000000006D00: 8652FF52 00FFFFFF
	s_mul_i32 s82, s82, s71                                    // 000000006D08: 92524752
	s_mul_i32 s61, s60, s61                                    // 000000006D0C: 923D3D3C
	s_add_u32 s82, s82, s61                                    // 000000006D10: 80523D52
	v_mul_lo_u32 v7, v4, s82                                   // 000000006D14: D2850007 0000A504
	v_add_u32_e32 v38, v6, v7                                  // 000000006D1C: 684C0F06
	v_readlane_b32 s82, v3, 6                                  // 000000006D20: D2890052 00010D03
	s_lshr_b32 s61, s82, 24                                    // 000000006D28: 8F3D9852
	s_and_b32 s82, s82, 0xffffff                               // 000000006D2C: 8652FF52 00FFFFFF
	s_mul_i32 s82, s82, s71                                    // 000000006D34: 92524752
	s_mul_i32 s61, s60, s61                                    // 000000006D38: 923D3D3C
	s_add_u32 s82, s82, s61                                    // 000000006D3C: 80523D52
	v_mul_lo_u32 v6, v5, s82                                   // 000000006D40: D2850006 0000A505
	v_readlane_b32 s82, v3, 7                                  // 000000006D48: D2890052 00010F03
	s_lshr_b32 s61, s82, 24                                    // 000000006D50: 8F3D9852
	s_and_b32 s82, s82, 0xffffff                               // 000000006D54: 8652FF52 00FFFFFF
	s_mul_i32 s82, s82, s71                                    // 000000006D5C: 92524752
	s_mul_i32 s61, s60, s61                                    // 000000006D60: 923D3D3C
	s_add_u32 s82, s82, s61                                    // 000000006D64: 80523D52
	v_mul_lo_u32 v7, v4, s82                                   // 000000006D68: D2850007 0000A504
	v_add_u32_e32 v39, v6, v7                                  // 000000006D70: 684E0F06
	v_and_b32_e32 v4, 31, v0                                   // 000000006D74: 2608009F
	v_lshrrev_b32_e32 v4, 1, v4                                // 000000006D78: 20080881
	s_cmp_eq_u32 s88, 0                                        // 000000006D7C: BF068058
	s_cselect_b32 s61, 2, 4                                    // 000000006D80: 853D8482
	v_mul_lo_u32 v4, v4, s61                                   // 000000006D84: D2850004 00007B04
	v_and_b32_e64 v5, v0, 1                                    // 000000006D8C: D1130005 00010300
	v_add_u32_e32 v4, v4, v5                                   // 000000006D94: 68080B04
	v_lshlrev_b32_e32 v4, 2, v4                                // 000000006D98: 24080882
	v_add_u32_e32 v36, v36, v4                                 // 000000006D9C: 68480924
	v_add_u32_e32 v37, v37, v4                                 // 000000006DA0: 684A0925
	v_add_u32_e32 v38, v38, v4                                 // 000000006DA4: 684C0926
	v_add_u32_e32 v39, v39, v4                                 // 000000006DA8: 684E0927
	s_waitcnt lgkmcnt(0)                                       // 000000006DAC: BF8CC07F
	s_barrier                                                  // 000000006DB0: BF8A0000
	ds_read_b32 v48, v21                                       // 000000006DB4: D86C0000 30000015
	ds_read_b32 v49, v21 offset:64                             // 000000006DBC: D86C0040 31000015
	ds_read_b32 v52, v21 offset:2176                           // 000000006DC4: D86C0880 34000015
	ds_read_b32 v53, v21 offset:2240                           // 000000006DCC: D86C08C0 35000015
	ds_read_b32 v56, v21 offset:4352                           // 000000006DD4: D86C1100 38000015
	ds_read_b32 v57, v21 offset:4416                           // 000000006DDC: D86C1140 39000015
	ds_read_b32 v60, v21 offset:6528                           // 000000006DE4: D86C1980 3C000015
	ds_read_b32 v61, v21 offset:6592                           // 000000006DEC: D86C19C0 3D000015
	ds_read_b32 v64, v21 offset:8704                           // 000000006DF4: D86C2200 40000015
	ds_read_b32 v65, v21 offset:8768                           // 000000006DFC: D86C2240 41000015
	ds_read_b32 v68, v21 offset:10880                          // 000000006E04: D86C2A80 44000015
	ds_read_b32 v69, v21 offset:10944                          // 000000006E0C: D86C2AC0 45000015
	ds_read_b32 v72, v21 offset:13056                          // 000000006E14: D86C3300 48000015
	ds_read_b32 v73, v21 offset:13120                          // 000000006E1C: D86C3340 49000015
	ds_read_b32 v76, v21 offset:15232                          // 000000006E24: D86C3B80 4C000015
	ds_read_b32 v77, v21 offset:15296                          // 000000006E2C: D86C3BC0 4D000015
	ds_read_b32 v80, v21 offset:17408                          // 000000006E34: D86C4400 50000015
	ds_read_b32 v81, v21 offset:17472                          // 000000006E3C: D86C4440 51000015
	ds_read_b32 v84, v21 offset:19584                          // 000000006E44: D86C4C80 54000015
	ds_read_b32 v85, v21 offset:19648                          // 000000006E4C: D86C4CC0 55000015
	ds_read_b32 v88, v21 offset:21760                          // 000000006E54: D86C5500 58000015
	ds_read_b32 v89, v21 offset:21824                          // 000000006E5C: D86C5540 59000015
	ds_read_b32 v92, v21 offset:23936                          // 000000006E64: D86C5D80 5C000015
	ds_read_b32 v93, v21 offset:24000                          // 000000006E6C: D86C5DC0 5D000015
	ds_read_b32 v96, v21 offset:26112                          // 000000006E74: D86C6600 60000015
	ds_read_b32 v97, v21 offset:26176                          // 000000006E7C: D86C6640 61000015
	ds_read_b32 v100, v21 offset:28288                         // 000000006E84: D86C6E80 64000015
	ds_read_b32 v101, v21 offset:28352                         // 000000006E8C: D86C6EC0 65000015
	ds_read_b32 v104, v21 offset:30464                         // 000000006E94: D86C7700 68000015
	ds_read_b32 v105, v21 offset:30528                         // 000000006E9C: D86C7740 69000015
	ds_read_b32 v108, v21 offset:32640                         // 000000006EA4: D86C7F80 6C000015
	ds_read_b32 v109, v21 offset:32704                         // 000000006EAC: D86C7FC0 6D000015
	s_waitcnt lgkmcnt(0)                                       // 000000006EB4: BF8CC07F
	s_mov_b32 s36, -1                                          // 000000006EB8: BEA400C1
	s_mov_b32 s37, -1                                          // 000000006EBC: BEA500C1
	v_mov_b32_e32 v7, 0                                        // 000000006EC0: 7E0E0280
	s_mov_b64 exec, s[36:37]                                   // 000000006EC4: BEFE0124
	v_mov_b32_e32 v6, v36                                      // 000000006EC8: 7E0C0324
	s_mov_b64 s[60:61], 0                                      // 000000006ECC: BEBC0180
	v_readlane_b32 s82, v3, 0                                  // 000000006ED0: D2890052 00010103
	s_and_b32 s82, s82, 0xffffff                               // 000000006ED8: 8652FF52 00FFFFFF
	s_cmp_lt_u32 s82, s66                                      // 000000006EE0: BF0A4252
	s_cselect_b32 s20, s36, s60                                // 000000006EE4: 85143C24
	v_readlane_b32 s82, v3, 1                                  // 000000006EE8: D2890052 00010303
	s_and_b32 s82, s82, 0xffffff                               // 000000006EF0: 8652FF52 00FFFFFF
	s_cmp_lt_u32 s82, s66                                      // 000000006EF8: BF0A4252
	s_cselect_b32 s21, s36, s60                                // 000000006EFC: 85153C24
	s_mov_b64 exec, s[20:21]                                   // 000000006F00: BEFE0114
	global_atomic_add_f32 v6, v48, s[8:9]                      // 000000006F04: DD348000 00083006
	global_atomic_add_f32 v6, v52, s[8:9] offset:256           // 000000006F0C: DD348100 00083406
	global_atomic_add_f32 v6, v56, s[8:9] offset:512           // 000000006F14: DD348200 00083806
	global_atomic_add_f32 v6, v60, s[8:9] offset:768           // 000000006F1C: DD348300 00083C06
	global_atomic_add_f32 v6, v64, s[8:9] offset:1024          // 000000006F24: DD348400 00084006
	global_atomic_add_f32 v6, v68, s[8:9] offset:1280          // 000000006F2C: DD348500 00084406
	global_atomic_add_f32 v6, v72, s[8:9] offset:1536          // 000000006F34: DD348600 00084806
	global_atomic_add_f32 v6, v76, s[8:9] offset:1792          // 000000006F3C: DD348700 00084C06
	s_mov_b64 exec, s[36:37]                                   // 000000006F44: BEFE0124
	v_mov_b32_e32 v6, v37                                      // 000000006F48: 7E0C0325
	s_mov_b64 s[60:61], 0                                      // 000000006F4C: BEBC0180
	v_readlane_b32 s82, v3, 2                                  // 000000006F50: D2890052 00010503
	s_and_b32 s82, s82, 0xffffff                               // 000000006F58: 8652FF52 00FFFFFF
	s_cmp_lt_u32 s82, s66                                      // 000000006F60: BF0A4252
	s_cselect_b32 s20, s36, s60                                // 000000006F64: 85143C24
	v_readlane_b32 s82, v3, 3                                  // 000000006F68: D2890052 00010703
	s_and_b32 s82, s82, 0xffffff                               // 000000006F70: 8652FF52 00FFFFFF
	s_cmp_lt_u32 s82, s66                                      // 000000006F78: BF0A4252
	s_cselect_b32 s21, s36, s60                                // 000000006F7C: 85153C24
	s_mov_b64 exec, s[20:21]                                   // 000000006F80: BEFE0114
	global_atomic_add_f32 v6, v49, s[8:9]                      // 000000006F84: DD348000 00083106
	global_atomic_add_f32 v6, v53, s[8:9] offset:256           // 000000006F8C: DD348100 00083506
	global_atomic_add_f32 v6, v57, s[8:9] offset:512           // 000000006F94: DD348200 00083906
	global_atomic_add_f32 v6, v61, s[8:9] offset:768           // 000000006F9C: DD348300 00083D06
	global_atomic_add_f32 v6, v65, s[8:9] offset:1024          // 000000006FA4: DD348400 00084106
	global_atomic_add_f32 v6, v69, s[8:9] offset:1280          // 000000006FAC: DD348500 00084506
	global_atomic_add_f32 v6, v73, s[8:9] offset:1536          // 000000006FB4: DD348600 00084906
	global_atomic_add_f32 v6, v77, s[8:9] offset:1792          // 000000006FBC: DD348700 00084D06
	s_mov_b64 exec, s[36:37]                                   // 000000006FC4: BEFE0124
	v_mov_b32_e32 v6, v38                                      // 000000006FC8: 7E0C0326
	s_mov_b64 s[60:61], 0                                      // 000000006FCC: BEBC0180
	v_readlane_b32 s82, v3, 4                                  // 000000006FD0: D2890052 00010903
	s_and_b32 s82, s82, 0xffffff                               // 000000006FD8: 8652FF52 00FFFFFF
	s_cmp_lt_u32 s82, s66                                      // 000000006FE0: BF0A4252
	s_cselect_b32 s20, s36, s60                                // 000000006FE4: 85143C24
	v_readlane_b32 s82, v3, 5                                  // 000000006FE8: D2890052 00010B03
	s_and_b32 s82, s82, 0xffffff                               // 000000006FF0: 8652FF52 00FFFFFF
	s_cmp_lt_u32 s82, s66                                      // 000000006FF8: BF0A4252
	s_cselect_b32 s21, s36, s60                                // 000000006FFC: 85153C24
	s_mov_b64 exec, s[20:21]                                   // 000000007000: BEFE0114
	global_atomic_add_f32 v6, v80, s[8:9]                      // 000000007004: DD348000 00085006
	global_atomic_add_f32 v6, v84, s[8:9] offset:256           // 00000000700C: DD348100 00085406
	global_atomic_add_f32 v6, v88, s[8:9] offset:512           // 000000007014: DD348200 00085806
	global_atomic_add_f32 v6, v92, s[8:9] offset:768           // 00000000701C: DD348300 00085C06
	global_atomic_add_f32 v6, v96, s[8:9] offset:1024          // 000000007024: DD348400 00086006
	global_atomic_add_f32 v6, v100, s[8:9] offset:1280         // 00000000702C: DD348500 00086406
	global_atomic_add_f32 v6, v104, s[8:9] offset:1536         // 000000007034: DD348600 00086806
	global_atomic_add_f32 v6, v108, s[8:9] offset:1792         // 00000000703C: DD348700 00086C06
	s_mov_b64 exec, s[36:37]                                   // 000000007044: BEFE0124
	v_mov_b32_e32 v6, v39                                      // 000000007048: 7E0C0327
	s_mov_b64 s[60:61], 0                                      // 00000000704C: BEBC0180
	v_readlane_b32 s82, v3, 6                                  // 000000007050: D2890052 00010D03
	s_and_b32 s82, s82, 0xffffff                               // 000000007058: 8652FF52 00FFFFFF
	s_cmp_lt_u32 s82, s66                                      // 000000007060: BF0A4252
	s_cselect_b32 s20, s36, s60                                // 000000007064: 85143C24
	v_readlane_b32 s82, v3, 7                                  // 000000007068: D2890052 00010F03
	s_and_b32 s82, s82, 0xffffff                               // 000000007070: 8652FF52 00FFFFFF
	s_cmp_lt_u32 s82, s66                                      // 000000007078: BF0A4252
	s_cselect_b32 s21, s36, s60                                // 00000000707C: 85153C24
	s_mov_b64 exec, s[20:21]                                   // 000000007080: BEFE0114
	global_atomic_add_f32 v6, v81, s[8:9]                      // 000000007084: DD348000 00085106
	global_atomic_add_f32 v6, v85, s[8:9] offset:256           // 00000000708C: DD348100 00085506
	global_atomic_add_f32 v6, v89, s[8:9] offset:512           // 000000007094: DD348200 00085906
	global_atomic_add_f32 v6, v93, s[8:9] offset:768           // 00000000709C: DD348300 00085D06
	global_atomic_add_f32 v6, v97, s[8:9] offset:1024          // 0000000070A4: DD348400 00086106
	global_atomic_add_f32 v6, v101, s[8:9] offset:1280         // 0000000070AC: DD348500 00086506
	global_atomic_add_f32 v6, v105, s[8:9] offset:1536         // 0000000070B4: DD348600 00086906
	global_atomic_add_f32 v6, v109, s[8:9] offset:1792         // 0000000070BC: DD348700 00086D06
	s_mov_b64 exec, s[36:37]                                   // 0000000070C4: BEFE0124
	ds_write_b64 v20, v[50:51]                                 // 0000000070C8: D89A0000 00003214
	ds_write_b64 v20, v[54:55] offset:17408                    // 0000000070D0: D89A4400 00003614
	ds_write_b64 v20, v[58:59] offset:2176                     // 0000000070D8: D89A0880 00003A14
	ds_write_b64 v20, v[62:63] offset:19584                    // 0000000070E0: D89A4C80 00003E14
	ds_write_b64 v20, v[66:67] offset:4352                     // 0000000070E8: D89A1100 00004214
	ds_write_b64 v20, v[70:71] offset:21760                    // 0000000070F0: D89A5500 00004614
	ds_write_b64 v20, v[74:75] offset:6528                     // 0000000070F8: D89A1980 00004A14
	ds_write_b64 v20, v[78:79] offset:23936                    // 000000007100: D89A5D80 00004E14
	ds_write_b64 v20, v[82:83] offset:8704                     // 000000007108: D89A2200 00005214
	ds_write_b64 v20, v[86:87] offset:26112                    // 000000007110: D89A6600 00005614
	ds_write_b64 v20, v[90:91] offset:10880                    // 000000007118: D89A2A80 00005A14
	ds_write_b64 v20, v[94:95] offset:28288                    // 000000007120: D89A6E80 00005E14
	ds_write_b64 v20, v[98:99] offset:13056                    // 000000007128: D89A3300 00006214
	ds_write_b64 v20, v[102:103] offset:30464                  // 000000007130: D89A7700 00006614
	ds_write_b64 v20, v[106:107] offset:15232                  // 000000007138: D89A3B80 00006A14
	ds_write_b64 v20, v[110:111] offset:32640                  // 000000007140: D89A7F80 00006E14
	s_waitcnt lgkmcnt(0)                                       // 000000007148: BF8CC07F
	s_barrier                                                  // 00000000714C: BF8A0000
	ds_read_b32 v50, v21                                       // 000000007150: D86C0000 32000015
	ds_read_b32 v51, v21 offset:64                             // 000000007158: D86C0040 33000015
	ds_read_b32 v54, v21 offset:2176                           // 000000007160: D86C0880 36000015
	ds_read_b32 v55, v21 offset:2240                           // 000000007168: D86C08C0 37000015
	ds_read_b32 v58, v21 offset:4352                           // 000000007170: D86C1100 3A000015
	ds_read_b32 v59, v21 offset:4416                           // 000000007178: D86C1140 3B000015
	ds_read_b32 v62, v21 offset:6528                           // 000000007180: D86C1980 3E000015
	ds_read_b32 v63, v21 offset:6592                           // 000000007188: D86C19C0 3F000015
	ds_read_b32 v66, v21 offset:8704                           // 000000007190: D86C2200 42000015
	ds_read_b32 v67, v21 offset:8768                           // 000000007198: D86C2240 43000015
	ds_read_b32 v70, v21 offset:10880                          // 0000000071A0: D86C2A80 46000015
	ds_read_b32 v71, v21 offset:10944                          // 0000000071A8: D86C2AC0 47000015
	ds_read_b32 v74, v21 offset:13056                          // 0000000071B0: D86C3300 4A000015
	ds_read_b32 v75, v21 offset:13120                          // 0000000071B8: D86C3340 4B000015
	ds_read_b32 v78, v21 offset:15232                          // 0000000071C0: D86C3B80 4E000015
	ds_read_b32 v79, v21 offset:15296                          // 0000000071C8: D86C3BC0 4F000015
	ds_read_b32 v82, v21 offset:17408                          // 0000000071D0: D86C4400 52000015
	ds_read_b32 v83, v21 offset:17472                          // 0000000071D8: D86C4440 53000015
	ds_read_b32 v86, v21 offset:19584                          // 0000000071E0: D86C4C80 56000015
	ds_read_b32 v87, v21 offset:19648                          // 0000000071E8: D86C4CC0 57000015
	ds_read_b32 v90, v21 offset:21760                          // 0000000071F0: D86C5500 5A000015
	ds_read_b32 v91, v21 offset:21824                          // 0000000071F8: D86C5540 5B000015
	ds_read_b32 v94, v21 offset:23936                          // 000000007200: D86C5D80 5E000015
	ds_read_b32 v95, v21 offset:24000                          // 000000007208: D86C5DC0 5F000015
	ds_read_b32 v98, v21 offset:26112                          // 000000007210: D86C6600 62000015
	ds_read_b32 v99, v21 offset:26176                          // 000000007218: D86C6640 63000015
	ds_read_b32 v102, v21 offset:28288                         // 000000007220: D86C6E80 66000015
	ds_read_b32 v103, v21 offset:28352                         // 000000007228: D86C6EC0 67000015
	ds_read_b32 v106, v21 offset:30464                         // 000000007230: D86C7700 6A000015
	ds_read_b32 v107, v21 offset:30528                         // 000000007238: D86C7740 6B000015
	ds_read_b32 v110, v21 offset:32640                         // 000000007240: D86C7F80 6E000015
	ds_read_b32 v111, v21 offset:32704                         // 000000007248: D86C7FC0 6F000015
	s_waitcnt lgkmcnt(0)                                       // 000000007250: BF8CC07F
	v_mov_b32_e32 v7, 0                                        // 000000007254: 7E0E0280
	s_mov_b64 exec, s[36:37]                                   // 000000007258: BEFE0124
	v_mov_b32_e32 v6, v36                                      // 00000000725C: 7E0C0324
	s_mov_b64 s[60:61], 0                                      // 000000007260: BEBC0180
	v_readlane_b32 s82, v3, 0                                  // 000000007264: D2890052 00010103
	s_and_b32 s82, s82, 0xffffff                               // 00000000726C: 8652FF52 00FFFFFF
	s_cmp_lt_u32 s82, s66                                      // 000000007274: BF0A4252
	s_cselect_b32 s20, s36, s60                                // 000000007278: 85143C24
	v_readlane_b32 s82, v3, 1                                  // 00000000727C: D2890052 00010303
	s_and_b32 s82, s82, 0xffffff                               // 000000007284: 8652FF52 00FFFFFF
	s_cmp_lt_u32 s82, s66                                      // 00000000728C: BF0A4252
	s_cselect_b32 s21, s36, s60                                // 000000007290: 85153C24
	s_mov_b64 exec, s[20:21]                                   // 000000007294: BEFE0114
	global_atomic_add_f32 v6, v50, s[8:9] offset:8             // 000000007298: DD348008 00083206
	global_atomic_add_f32 v6, v54, s[8:9] offset:264           // 0000000072A0: DD348108 00083606
	global_atomic_add_f32 v6, v58, s[8:9] offset:520           // 0000000072A8: DD348208 00083A06
	global_atomic_add_f32 v6, v62, s[8:9] offset:776           // 0000000072B0: DD348308 00083E06
	global_atomic_add_f32 v6, v66, s[8:9] offset:1032          // 0000000072B8: DD348408 00084206
	global_atomic_add_f32 v6, v70, s[8:9] offset:1288          // 0000000072C0: DD348508 00084606
	global_atomic_add_f32 v6, v74, s[8:9] offset:1544          // 0000000072C8: DD348608 00084A06
	global_atomic_add_f32 v6, v78, s[8:9] offset:1800          // 0000000072D0: DD348708 00084E06
	s_mov_b64 exec, s[36:37]                                   // 0000000072D8: BEFE0124
	v_mov_b32_e32 v6, v37                                      // 0000000072DC: 7E0C0325
	s_mov_b64 s[60:61], 0                                      // 0000000072E0: BEBC0180
	v_readlane_b32 s82, v3, 2                                  // 0000000072E4: D2890052 00010503
	s_and_b32 s82, s82, 0xffffff                               // 0000000072EC: 8652FF52 00FFFFFF
	s_cmp_lt_u32 s82, s66                                      // 0000000072F4: BF0A4252
	s_cselect_b32 s20, s36, s60                                // 0000000072F8: 85143C24
	v_readlane_b32 s82, v3, 3                                  // 0000000072FC: D2890052 00010703
	s_and_b32 s82, s82, 0xffffff                               // 000000007304: 8652FF52 00FFFFFF
	s_cmp_lt_u32 s82, s66                                      // 00000000730C: BF0A4252
	s_cselect_b32 s21, s36, s60                                // 000000007310: 85153C24
	s_mov_b64 exec, s[20:21]                                   // 000000007314: BEFE0114
	global_atomic_add_f32 v6, v51, s[8:9] offset:8             // 000000007318: DD348008 00083306
	global_atomic_add_f32 v6, v55, s[8:9] offset:264           // 000000007320: DD348108 00083706
	global_atomic_add_f32 v6, v59, s[8:9] offset:520           // 000000007328: DD348208 00083B06
	global_atomic_add_f32 v6, v63, s[8:9] offset:776           // 000000007330: DD348308 00083F06
	global_atomic_add_f32 v6, v67, s[8:9] offset:1032          // 000000007338: DD348408 00084306
	global_atomic_add_f32 v6, v71, s[8:9] offset:1288          // 000000007340: DD348508 00084706
	global_atomic_add_f32 v6, v75, s[8:9] offset:1544          // 000000007348: DD348608 00084B06
	global_atomic_add_f32 v6, v79, s[8:9] offset:1800          // 000000007350: DD348708 00084F06
	s_mov_b64 exec, s[36:37]                                   // 000000007358: BEFE0124
	v_mov_b32_e32 v6, v38                                      // 00000000735C: 7E0C0326
	s_mov_b64 s[60:61], 0                                      // 000000007360: BEBC0180
	v_readlane_b32 s82, v3, 4                                  // 000000007364: D2890052 00010903
	s_and_b32 s82, s82, 0xffffff                               // 00000000736C: 8652FF52 00FFFFFF
	s_cmp_lt_u32 s82, s66                                      // 000000007374: BF0A4252
	s_cselect_b32 s20, s36, s60                                // 000000007378: 85143C24
	v_readlane_b32 s82, v3, 5                                  // 00000000737C: D2890052 00010B03
	s_and_b32 s82, s82, 0xffffff                               // 000000007384: 8652FF52 00FFFFFF
	s_cmp_lt_u32 s82, s66                                      // 00000000738C: BF0A4252
	s_cselect_b32 s21, s36, s60                                // 000000007390: 85153C24
	s_mov_b64 exec, s[20:21]                                   // 000000007394: BEFE0114
	global_atomic_add_f32 v6, v82, s[8:9] offset:8             // 000000007398: DD348008 00085206
	global_atomic_add_f32 v6, v86, s[8:9] offset:264           // 0000000073A0: DD348108 00085606
	global_atomic_add_f32 v6, v90, s[8:9] offset:520           // 0000000073A8: DD348208 00085A06
	global_atomic_add_f32 v6, v94, s[8:9] offset:776           // 0000000073B0: DD348308 00085E06
	global_atomic_add_f32 v6, v98, s[8:9] offset:1032          // 0000000073B8: DD348408 00086206
	global_atomic_add_f32 v6, v102, s[8:9] offset:1288         // 0000000073C0: DD348508 00086606
	global_atomic_add_f32 v6, v106, s[8:9] offset:1544         // 0000000073C8: DD348608 00086A06
	global_atomic_add_f32 v6, v110, s[8:9] offset:1800         // 0000000073D0: DD348708 00086E06
	s_mov_b64 exec, s[36:37]                                   // 0000000073D8: BEFE0124
	v_mov_b32_e32 v6, v39                                      // 0000000073DC: 7E0C0327
	s_mov_b64 s[60:61], 0                                      // 0000000073E0: BEBC0180
	v_readlane_b32 s82, v3, 6                                  // 0000000073E4: D2890052 00010D03
	s_and_b32 s82, s82, 0xffffff                               // 0000000073EC: 8652FF52 00FFFFFF
	s_cmp_lt_u32 s82, s66                                      // 0000000073F4: BF0A4252
	s_cselect_b32 s20, s36, s60                                // 0000000073F8: 85143C24
	v_readlane_b32 s82, v3, 7                                  // 0000000073FC: D2890052 00010F03
	s_and_b32 s82, s82, 0xffffff                               // 000000007404: 8652FF52 00FFFFFF
	s_cmp_lt_u32 s82, s66                                      // 00000000740C: BF0A4252
	s_cselect_b32 s21, s36, s60                                // 000000007410: 85153C24
	s_mov_b64 exec, s[20:21]                                   // 000000007414: BEFE0114
	global_atomic_add_f32 v6, v83, s[8:9] offset:8             // 000000007418: DD348008 00085306
	global_atomic_add_f32 v6, v87, s[8:9] offset:264           // 000000007420: DD348108 00085706
	global_atomic_add_f32 v6, v91, s[8:9] offset:520           // 000000007428: DD348208 00085B06
	global_atomic_add_f32 v6, v95, s[8:9] offset:776           // 000000007430: DD348308 00085F06
	global_atomic_add_f32 v6, v99, s[8:9] offset:1032          // 000000007438: DD348408 00086306
	global_atomic_add_f32 v6, v103, s[8:9] offset:1288         // 000000007440: DD348508 00086706
	global_atomic_add_f32 v6, v107, s[8:9] offset:1544         // 000000007448: DD348608 00086B06
	global_atomic_add_f32 v6, v111, s[8:9] offset:1800         // 000000007450: DD348708 00086F06
	s_mov_b64 exec, s[36:37]                                   // 000000007458: BEFE0124
	ds_write_b64 v20, v[112:113]                               // 00000000745C: D89A0000 00007014
	ds_write_b64 v20, v[116:117] offset:17408                  // 000000007464: D89A4400 00007414
	ds_write_b64 v20, v[120:121] offset:2176                   // 00000000746C: D89A0880 00007814
	ds_write_b64 v20, v[124:125] offset:19584                  // 000000007474: D89A4C80 00007C14
	ds_write_b64 v20, v[128:129] offset:4352                   // 00000000747C: D89A1100 00008014
	ds_write_b64 v20, v[132:133] offset:21760                  // 000000007484: D89A5500 00008414
	ds_write_b64 v20, v[136:137] offset:6528                   // 00000000748C: D89A1980 00008814
	ds_write_b64 v20, v[140:141] offset:23936                  // 000000007494: D89A5D80 00008C14
	ds_write_b64 v20, v[144:145] offset:8704                   // 00000000749C: D89A2200 00009014
	ds_write_b64 v20, v[148:149] offset:26112                  // 0000000074A4: D89A6600 00009414
	ds_write_b64 v20, v[152:153] offset:10880                  // 0000000074AC: D89A2A80 00009814
	ds_write_b64 v20, v[156:157] offset:28288                  // 0000000074B4: D89A6E80 00009C14
	ds_write_b64 v20, v[160:161] offset:13056                  // 0000000074BC: D89A3300 0000A014
	ds_write_b64 v20, v[164:165] offset:30464                  // 0000000074C4: D89A7700 0000A414
	ds_write_b64 v20, v[168:169] offset:15232                  // 0000000074CC: D89A3B80 0000A814
	ds_write_b64 v20, v[172:173] offset:32640                  // 0000000074D4: D89A7F80 0000AC14
	s_waitcnt lgkmcnt(0)                                       // 0000000074DC: BF8CC07F
	s_barrier                                                  // 0000000074E0: BF8A0000
	ds_read_b32 v112, v21                                      // 0000000074E4: D86C0000 70000015
	ds_read_b32 v113, v21 offset:64                            // 0000000074EC: D86C0040 71000015
	ds_read_b32 v116, v21 offset:2176                          // 0000000074F4: D86C0880 74000015
	ds_read_b32 v117, v21 offset:2240                          // 0000000074FC: D86C08C0 75000015
	ds_read_b32 v120, v21 offset:4352                          // 000000007504: D86C1100 78000015
	ds_read_b32 v121, v21 offset:4416                          // 00000000750C: D86C1140 79000015
	ds_read_b32 v124, v21 offset:6528                          // 000000007514: D86C1980 7C000015
	ds_read_b32 v125, v21 offset:6592                          // 00000000751C: D86C19C0 7D000015
	ds_read_b32 v128, v21 offset:8704                          // 000000007524: D86C2200 80000015
	ds_read_b32 v129, v21 offset:8768                          // 00000000752C: D86C2240 81000015
	ds_read_b32 v132, v21 offset:10880                         // 000000007534: D86C2A80 84000015
	ds_read_b32 v133, v21 offset:10944                         // 00000000753C: D86C2AC0 85000015
	ds_read_b32 v136, v21 offset:13056                         // 000000007544: D86C3300 88000015
	ds_read_b32 v137, v21 offset:13120                         // 00000000754C: D86C3340 89000015
	ds_read_b32 v140, v21 offset:15232                         // 000000007554: D86C3B80 8C000015
	ds_read_b32 v141, v21 offset:15296                         // 00000000755C: D86C3BC0 8D000015
	ds_read_b32 v144, v21 offset:17408                         // 000000007564: D86C4400 90000015
	ds_read_b32 v145, v21 offset:17472                         // 00000000756C: D86C4440 91000015
	ds_read_b32 v148, v21 offset:19584                         // 000000007574: D86C4C80 94000015
	ds_read_b32 v149, v21 offset:19648                         // 00000000757C: D86C4CC0 95000015
	ds_read_b32 v152, v21 offset:21760                         // 000000007584: D86C5500 98000015
	ds_read_b32 v153, v21 offset:21824                         // 00000000758C: D86C5540 99000015
	ds_read_b32 v156, v21 offset:23936                         // 000000007594: D86C5D80 9C000015
	ds_read_b32 v157, v21 offset:24000                         // 00000000759C: D86C5DC0 9D000015
	ds_read_b32 v160, v21 offset:26112                         // 0000000075A4: D86C6600 A0000015
	ds_read_b32 v161, v21 offset:26176                         // 0000000075AC: D86C6640 A1000015
	ds_read_b32 v164, v21 offset:28288                         // 0000000075B4: D86C6E80 A4000015
	ds_read_b32 v165, v21 offset:28352                         // 0000000075BC: D86C6EC0 A5000015
	ds_read_b32 v168, v21 offset:30464                         // 0000000075C4: D86C7700 A8000015
	ds_read_b32 v169, v21 offset:30528                         // 0000000075CC: D86C7740 A9000015
	ds_read_b32 v172, v21 offset:32640                         // 0000000075D4: D86C7F80 AC000015
	ds_read_b32 v173, v21 offset:32704                         // 0000000075DC: D86C7FC0 AD000015
	s_mul_i32 s60, s65, 4                                      // 0000000075E4: 923C8441
	s_add_u32 s8, s60, s8                                      // 0000000075E8: 8008083C
	s_addc_u32 s9, 0, s9                                       // 0000000075EC: 82090980
	s_waitcnt lgkmcnt(0)                                       // 0000000075F0: BF8CC07F
	v_mov_b32_e32 v7, 0                                        // 0000000075F4: 7E0E0280
	s_mov_b64 exec, s[36:37]                                   // 0000000075F8: BEFE0124
	v_mov_b32_e32 v6, v36                                      // 0000000075FC: 7E0C0324
	s_mov_b64 s[60:61], 0                                      // 000000007600: BEBC0180
	v_readlane_b32 s82, v3, 0                                  // 000000007604: D2890052 00010103
	s_and_b32 s82, s82, 0xffffff                               // 00000000760C: 8652FF52 00FFFFFF
	s_cmp_lt_u32 s82, s66                                      // 000000007614: BF0A4252
	s_cselect_b32 s20, s36, s60                                // 000000007618: 85143C24
	v_readlane_b32 s82, v3, 1                                  // 00000000761C: D2890052 00010303
	s_and_b32 s82, s82, 0xffffff                               // 000000007624: 8652FF52 00FFFFFF
	s_cmp_lt_u32 s82, s66                                      // 00000000762C: BF0A4252
	s_cselect_b32 s21, s36, s60                                // 000000007630: 85153C24
	s_mov_b64 exec, s[20:21]                                   // 000000007634: BEFE0114
	global_atomic_add_f32 v6, v112, s[8:9]                     // 000000007638: DD348000 00087006
	global_atomic_add_f32 v6, v116, s[8:9] offset:256          // 000000007640: DD348100 00087406
	global_atomic_add_f32 v6, v120, s[8:9] offset:512          // 000000007648: DD348200 00087806
	global_atomic_add_f32 v6, v124, s[8:9] offset:768          // 000000007650: DD348300 00087C06
	global_atomic_add_f32 v6, v128, s[8:9] offset:1024         // 000000007658: DD348400 00088006
	global_atomic_add_f32 v6, v132, s[8:9] offset:1280         // 000000007660: DD348500 00088406
	global_atomic_add_f32 v6, v136, s[8:9] offset:1536         // 000000007668: DD348600 00088806
	global_atomic_add_f32 v6, v140, s[8:9] offset:1792         // 000000007670: DD348700 00088C06
	s_mov_b64 exec, s[36:37]                                   // 000000007678: BEFE0124
	v_mov_b32_e32 v6, v37                                      // 00000000767C: 7E0C0325
	s_mov_b64 s[60:61], 0                                      // 000000007680: BEBC0180
	v_readlane_b32 s82, v3, 2                                  // 000000007684: D2890052 00010503
	s_and_b32 s82, s82, 0xffffff                               // 00000000768C: 8652FF52 00FFFFFF
	s_cmp_lt_u32 s82, s66                                      // 000000007694: BF0A4252
	s_cselect_b32 s20, s36, s60                                // 000000007698: 85143C24
	v_readlane_b32 s82, v3, 3                                  // 00000000769C: D2890052 00010703
	s_and_b32 s82, s82, 0xffffff                               // 0000000076A4: 8652FF52 00FFFFFF
	s_cmp_lt_u32 s82, s66                                      // 0000000076AC: BF0A4252
	s_cselect_b32 s21, s36, s60                                // 0000000076B0: 85153C24
	s_mov_b64 exec, s[20:21]                                   // 0000000076B4: BEFE0114
	global_atomic_add_f32 v6, v113, s[8:9]                     // 0000000076B8: DD348000 00087106
	global_atomic_add_f32 v6, v117, s[8:9] offset:256          // 0000000076C0: DD348100 00087506
	global_atomic_add_f32 v6, v121, s[8:9] offset:512          // 0000000076C8: DD348200 00087906
	global_atomic_add_f32 v6, v125, s[8:9] offset:768          // 0000000076D0: DD348300 00087D06
	global_atomic_add_f32 v6, v129, s[8:9] offset:1024         // 0000000076D8: DD348400 00088106
	global_atomic_add_f32 v6, v133, s[8:9] offset:1280         // 0000000076E0: DD348500 00088506
	global_atomic_add_f32 v6, v137, s[8:9] offset:1536         // 0000000076E8: DD348600 00088906
	global_atomic_add_f32 v6, v141, s[8:9] offset:1792         // 0000000076F0: DD348700 00088D06
	s_mov_b64 exec, s[36:37]                                   // 0000000076F8: BEFE0124
	v_mov_b32_e32 v6, v38                                      // 0000000076FC: 7E0C0326
	s_mov_b64 s[60:61], 0                                      // 000000007700: BEBC0180
	v_readlane_b32 s82, v3, 4                                  // 000000007704: D2890052 00010903
	s_and_b32 s82, s82, 0xffffff                               // 00000000770C: 8652FF52 00FFFFFF
	s_cmp_lt_u32 s82, s66                                      // 000000007714: BF0A4252
	s_cselect_b32 s20, s36, s60                                // 000000007718: 85143C24
	v_readlane_b32 s82, v3, 5                                  // 00000000771C: D2890052 00010B03
	s_and_b32 s82, s82, 0xffffff                               // 000000007724: 8652FF52 00FFFFFF
	s_cmp_lt_u32 s82, s66                                      // 00000000772C: BF0A4252
	s_cselect_b32 s21, s36, s60                                // 000000007730: 85153C24
	s_mov_b64 exec, s[20:21]                                   // 000000007734: BEFE0114
	global_atomic_add_f32 v6, v144, s[8:9]                     // 000000007738: DD348000 00089006
	global_atomic_add_f32 v6, v148, s[8:9] offset:256          // 000000007740: DD348100 00089406
	global_atomic_add_f32 v6, v152, s[8:9] offset:512          // 000000007748: DD348200 00089806
	global_atomic_add_f32 v6, v156, s[8:9] offset:768          // 000000007750: DD348300 00089C06
	global_atomic_add_f32 v6, v160, s[8:9] offset:1024         // 000000007758: DD348400 0008A006
	global_atomic_add_f32 v6, v164, s[8:9] offset:1280         // 000000007760: DD348500 0008A406
	global_atomic_add_f32 v6, v168, s[8:9] offset:1536         // 000000007768: DD348600 0008A806
	global_atomic_add_f32 v6, v172, s[8:9] offset:1792         // 000000007770: DD348700 0008AC06
	s_mov_b64 exec, s[36:37]                                   // 000000007778: BEFE0124
	v_mov_b32_e32 v6, v39                                      // 00000000777C: 7E0C0327
	s_mov_b64 s[60:61], 0                                      // 000000007780: BEBC0180
	v_readlane_b32 s82, v3, 6                                  // 000000007784: D2890052 00010D03
	s_and_b32 s82, s82, 0xffffff                               // 00000000778C: 8652FF52 00FFFFFF
	s_cmp_lt_u32 s82, s66                                      // 000000007794: BF0A4252
	s_cselect_b32 s20, s36, s60                                // 000000007798: 85143C24
	v_readlane_b32 s82, v3, 7                                  // 00000000779C: D2890052 00010F03
	s_and_b32 s82, s82, 0xffffff                               // 0000000077A4: 8652FF52 00FFFFFF
	s_cmp_lt_u32 s82, s66                                      // 0000000077AC: BF0A4252
	s_cselect_b32 s21, s36, s60                                // 0000000077B0: 85153C24
	s_mov_b64 exec, s[20:21]                                   // 0000000077B4: BEFE0114
	global_atomic_add_f32 v6, v145, s[8:9]                     // 0000000077B8: DD348000 00089106
	global_atomic_add_f32 v6, v149, s[8:9] offset:256          // 0000000077C0: DD348100 00089506
	global_atomic_add_f32 v6, v153, s[8:9] offset:512          // 0000000077C8: DD348200 00089906
	global_atomic_add_f32 v6, v157, s[8:9] offset:768          // 0000000077D0: DD348300 00089D06
	global_atomic_add_f32 v6, v161, s[8:9] offset:1024         // 0000000077D8: DD348400 0008A106
	global_atomic_add_f32 v6, v165, s[8:9] offset:1280         // 0000000077E0: DD348500 0008A506
	global_atomic_add_f32 v6, v169, s[8:9] offset:1536         // 0000000077E8: DD348600 0008A906
	global_atomic_add_f32 v6, v173, s[8:9] offset:1792         // 0000000077F0: DD348700 0008AD06
	s_mov_b64 exec, s[36:37]                                   // 0000000077F8: BEFE0124
	ds_write_b64 v20, v[114:115]                               // 0000000077FC: D89A0000 00007214
	ds_write_b64 v20, v[118:119] offset:17408                  // 000000007804: D89A4400 00007614
	ds_write_b64 v20, v[122:123] offset:2176                   // 00000000780C: D89A0880 00007A14
	ds_write_b64 v20, v[126:127] offset:19584                  // 000000007814: D89A4C80 00007E14
	ds_write_b64 v20, v[130:131] offset:4352                   // 00000000781C: D89A1100 00008214
	ds_write_b64 v20, v[134:135] offset:21760                  // 000000007824: D89A5500 00008614
	ds_write_b64 v20, v[138:139] offset:6528                   // 00000000782C: D89A1980 00008A14
	ds_write_b64 v20, v[142:143] offset:23936                  // 000000007834: D89A5D80 00008E14
	ds_write_b64 v20, v[146:147] offset:8704                   // 00000000783C: D89A2200 00009214
	ds_write_b64 v20, v[150:151] offset:26112                  // 000000007844: D89A6600 00009614
	ds_write_b64 v20, v[154:155] offset:10880                  // 00000000784C: D89A2A80 00009A14
	ds_write_b64 v20, v[158:159] offset:28288                  // 000000007854: D89A6E80 00009E14
	ds_write_b64 v20, v[162:163] offset:13056                  // 00000000785C: D89A3300 0000A214
	ds_write_b64 v20, v[166:167] offset:30464                  // 000000007864: D89A7700 0000A614
	ds_write_b64 v20, v[170:171] offset:15232                  // 00000000786C: D89A3B80 0000AA14
	ds_write_b64 v20, v[174:175] offset:32640                  // 000000007874: D89A7F80 0000AE14
	s_waitcnt lgkmcnt(0)                                       // 00000000787C: BF8CC07F
	s_barrier                                                  // 000000007880: BF8A0000
	ds_read_b32 v114, v21                                      // 000000007884: D86C0000 72000015
	ds_read_b32 v115, v21 offset:64                            // 00000000788C: D86C0040 73000015
	ds_read_b32 v118, v21 offset:2176                          // 000000007894: D86C0880 76000015
	ds_read_b32 v119, v21 offset:2240                          // 00000000789C: D86C08C0 77000015
	ds_read_b32 v122, v21 offset:4352                          // 0000000078A4: D86C1100 7A000015
	ds_read_b32 v123, v21 offset:4416                          // 0000000078AC: D86C1140 7B000015
	ds_read_b32 v126, v21 offset:6528                          // 0000000078B4: D86C1980 7E000015
	ds_read_b32 v127, v21 offset:6592                          // 0000000078BC: D86C19C0 7F000015
	ds_read_b32 v130, v21 offset:8704                          // 0000000078C4: D86C2200 82000015
	ds_read_b32 v131, v21 offset:8768                          // 0000000078CC: D86C2240 83000015
	ds_read_b32 v134, v21 offset:10880                         // 0000000078D4: D86C2A80 86000015
	ds_read_b32 v135, v21 offset:10944                         // 0000000078DC: D86C2AC0 87000015
	ds_read_b32 v138, v21 offset:13056                         // 0000000078E4: D86C3300 8A000015
	ds_read_b32 v139, v21 offset:13120                         // 0000000078EC: D86C3340 8B000015
	ds_read_b32 v142, v21 offset:15232                         // 0000000078F4: D86C3B80 8E000015
	ds_read_b32 v143, v21 offset:15296                         // 0000000078FC: D86C3BC0 8F000015
	ds_read_b32 v146, v21 offset:17408                         // 000000007904: D86C4400 92000015
	ds_read_b32 v147, v21 offset:17472                         // 00000000790C: D86C4440 93000015
	ds_read_b32 v150, v21 offset:19584                         // 000000007914: D86C4C80 96000015
	ds_read_b32 v151, v21 offset:19648                         // 00000000791C: D86C4CC0 97000015
	ds_read_b32 v154, v21 offset:21760                         // 000000007924: D86C5500 9A000015
	ds_read_b32 v155, v21 offset:21824                         // 00000000792C: D86C5540 9B000015
	ds_read_b32 v158, v21 offset:23936                         // 000000007934: D86C5D80 9E000015
	ds_read_b32 v159, v21 offset:24000                         // 00000000793C: D86C5DC0 9F000015
	ds_read_b32 v162, v21 offset:26112                         // 000000007944: D86C6600 A2000015
	ds_read_b32 v163, v21 offset:26176                         // 00000000794C: D86C6640 A3000015
	ds_read_b32 v166, v21 offset:28288                         // 000000007954: D86C6E80 A6000015
	ds_read_b32 v167, v21 offset:28352                         // 00000000795C: D86C6EC0 A7000015
	ds_read_b32 v170, v21 offset:30464                         // 000000007964: D86C7700 AA000015
	ds_read_b32 v171, v21 offset:30528                         // 00000000796C: D86C7740 AB000015
	ds_read_b32 v174, v21 offset:32640                         // 000000007974: D86C7F80 AE000015
	ds_read_b32 v175, v21 offset:32704                         // 00000000797C: D86C7FC0 AF000015
	s_waitcnt lgkmcnt(0)                                       // 000000007984: BF8CC07F
	v_mov_b32_e32 v7, 0                                        // 000000007988: 7E0E0280
	s_mov_b64 exec, s[36:37]                                   // 00000000798C: BEFE0124
	v_mov_b32_e32 v6, v36                                      // 000000007990: 7E0C0324
	s_mov_b64 s[60:61], 0                                      // 000000007994: BEBC0180
	v_readlane_b32 s82, v3, 0                                  // 000000007998: D2890052 00010103
	s_and_b32 s82, s82, 0xffffff                               // 0000000079A0: 8652FF52 00FFFFFF
	s_cmp_lt_u32 s82, s66                                      // 0000000079A8: BF0A4252
	s_cselect_b32 s20, s36, s60                                // 0000000079AC: 85143C24
	v_readlane_b32 s82, v3, 1                                  // 0000000079B0: D2890052 00010303
	s_and_b32 s82, s82, 0xffffff                               // 0000000079B8: 8652FF52 00FFFFFF
	s_cmp_lt_u32 s82, s66                                      // 0000000079C0: BF0A4252
	s_cselect_b32 s21, s36, s60                                // 0000000079C4: 85153C24
	s_mov_b64 exec, s[20:21]                                   // 0000000079C8: BEFE0114
	global_atomic_add_f32 v6, v114, s[8:9] offset:8            // 0000000079CC: DD348008 00087206
	global_atomic_add_f32 v6, v118, s[8:9] offset:264          // 0000000079D4: DD348108 00087606
	global_atomic_add_f32 v6, v122, s[8:9] offset:520          // 0000000079DC: DD348208 00087A06
	global_atomic_add_f32 v6, v126, s[8:9] offset:776          // 0000000079E4: DD348308 00087E06
	global_atomic_add_f32 v6, v130, s[8:9] offset:1032         // 0000000079EC: DD348408 00088206
	global_atomic_add_f32 v6, v134, s[8:9] offset:1288         // 0000000079F4: DD348508 00088606
	global_atomic_add_f32 v6, v138, s[8:9] offset:1544         // 0000000079FC: DD348608 00088A06
	global_atomic_add_f32 v6, v142, s[8:9] offset:1800         // 000000007A04: DD348708 00088E06
	s_mov_b64 exec, s[36:37]                                   // 000000007A0C: BEFE0124
	v_mov_b32_e32 v6, v37                                      // 000000007A10: 7E0C0325
	s_mov_b64 s[60:61], 0                                      // 000000007A14: BEBC0180
	v_readlane_b32 s82, v3, 2                                  // 000000007A18: D2890052 00010503
	s_and_b32 s82, s82, 0xffffff                               // 000000007A20: 8652FF52 00FFFFFF
	s_cmp_lt_u32 s82, s66                                      // 000000007A28: BF0A4252
	s_cselect_b32 s20, s36, s60                                // 000000007A2C: 85143C24
	v_readlane_b32 s82, v3, 3                                  // 000000007A30: D2890052 00010703
	s_and_b32 s82, s82, 0xffffff                               // 000000007A38: 8652FF52 00FFFFFF
	s_cmp_lt_u32 s82, s66                                      // 000000007A40: BF0A4252
	s_cselect_b32 s21, s36, s60                                // 000000007A44: 85153C24
	s_mov_b64 exec, s[20:21]                                   // 000000007A48: BEFE0114
	global_atomic_add_f32 v6, v115, s[8:9] offset:8            // 000000007A4C: DD348008 00087306
	global_atomic_add_f32 v6, v119, s[8:9] offset:264          // 000000007A54: DD348108 00087706
	global_atomic_add_f32 v6, v123, s[8:9] offset:520          // 000000007A5C: DD348208 00087B06
	global_atomic_add_f32 v6, v127, s[8:9] offset:776          // 000000007A64: DD348308 00087F06
	global_atomic_add_f32 v6, v131, s[8:9] offset:1032         // 000000007A6C: DD348408 00088306
	global_atomic_add_f32 v6, v135, s[8:9] offset:1288         // 000000007A74: DD348508 00088706
	global_atomic_add_f32 v6, v139, s[8:9] offset:1544         // 000000007A7C: DD348608 00088B06
	global_atomic_add_f32 v6, v143, s[8:9] offset:1800         // 000000007A84: DD348708 00088F06
	s_mov_b64 exec, s[36:37]                                   // 000000007A8C: BEFE0124
	v_mov_b32_e32 v6, v38                                      // 000000007A90: 7E0C0326
	s_mov_b64 s[60:61], 0                                      // 000000007A94: BEBC0180
	v_readlane_b32 s82, v3, 4                                  // 000000007A98: D2890052 00010903
	s_and_b32 s82, s82, 0xffffff                               // 000000007AA0: 8652FF52 00FFFFFF
	s_cmp_lt_u32 s82, s66                                      // 000000007AA8: BF0A4252
	s_cselect_b32 s20, s36, s60                                // 000000007AAC: 85143C24
	v_readlane_b32 s82, v3, 5                                  // 000000007AB0: D2890052 00010B03
	s_and_b32 s82, s82, 0xffffff                               // 000000007AB8: 8652FF52 00FFFFFF
	s_cmp_lt_u32 s82, s66                                      // 000000007AC0: BF0A4252
	s_cselect_b32 s21, s36, s60                                // 000000007AC4: 85153C24
	s_mov_b64 exec, s[20:21]                                   // 000000007AC8: BEFE0114
	global_atomic_add_f32 v6, v146, s[8:9] offset:8            // 000000007ACC: DD348008 00089206
	global_atomic_add_f32 v6, v150, s[8:9] offset:264          // 000000007AD4: DD348108 00089606
	global_atomic_add_f32 v6, v154, s[8:9] offset:520          // 000000007ADC: DD348208 00089A06
	global_atomic_add_f32 v6, v158, s[8:9] offset:776          // 000000007AE4: DD348308 00089E06
	global_atomic_add_f32 v6, v162, s[8:9] offset:1032         // 000000007AEC: DD348408 0008A206
	global_atomic_add_f32 v6, v166, s[8:9] offset:1288         // 000000007AF4: DD348508 0008A606
	global_atomic_add_f32 v6, v170, s[8:9] offset:1544         // 000000007AFC: DD348608 0008AA06
	global_atomic_add_f32 v6, v174, s[8:9] offset:1800         // 000000007B04: DD348708 0008AE06
	s_mov_b64 exec, s[36:37]                                   // 000000007B0C: BEFE0124
	v_mov_b32_e32 v6, v39                                      // 000000007B10: 7E0C0327
	s_mov_b64 s[60:61], 0                                      // 000000007B14: BEBC0180
	v_readlane_b32 s82, v3, 6                                  // 000000007B18: D2890052 00010D03
	s_and_b32 s82, s82, 0xffffff                               // 000000007B20: 8652FF52 00FFFFFF
	s_cmp_lt_u32 s82, s66                                      // 000000007B28: BF0A4252
	s_cselect_b32 s20, s36, s60                                // 000000007B2C: 85143C24
	v_readlane_b32 s82, v3, 7                                  // 000000007B30: D2890052 00010F03
	s_and_b32 s82, s82, 0xffffff                               // 000000007B38: 8652FF52 00FFFFFF
	s_cmp_lt_u32 s82, s66                                      // 000000007B40: BF0A4252
	s_cselect_b32 s21, s36, s60                                // 000000007B44: 85153C24
	s_mov_b64 exec, s[20:21]                                   // 000000007B48: BEFE0114
	global_atomic_add_f32 v6, v147, s[8:9] offset:8            // 000000007B4C: DD348008 00089306
	global_atomic_add_f32 v6, v151, s[8:9] offset:264          // 000000007B54: DD348108 00089706
	global_atomic_add_f32 v6, v155, s[8:9] offset:520          // 000000007B5C: DD348208 00089B06
	global_atomic_add_f32 v6, v159, s[8:9] offset:776          // 000000007B64: DD348308 00089F06
	global_atomic_add_f32 v6, v163, s[8:9] offset:1032         // 000000007B6C: DD348408 0008A306
	global_atomic_add_f32 v6, v167, s[8:9] offset:1288         // 000000007B74: DD348508 0008A706
	global_atomic_add_f32 v6, v171, s[8:9] offset:1544         // 000000007B7C: DD348608 0008AB06
	global_atomic_add_f32 v6, v175, s[8:9] offset:1800         // 000000007B84: DD348708 0008AF06
	s_mov_b64 exec, s[36:37]                                   // 000000007B8C: BEFE0124
	s_branch label_267C                                        // 000000007B90: BF821214

0000000000007b94 <label_1468>:
	s_waitcnt vmcnt(14) lgkmcnt(0)                             // 000000007B94: BF8C007E
	s_barrier                                                  // 000000007B98: BF8A0000
	v_mov_b32_e32 v34, v30                                     // 000000007B9C: 7E44031E
	v_mov_b32_e32 v35, v31                                     // 000000007BA0: 7E46031F
	v_mul_f32_dpp v4, v24, v34 row_newbcast:0 row_mask:0xf bank_mask:0xf// 000000007BA4: 0A0844FA FF015018
	v_mfma_f32_16x16x32_fp8_fp8 v[8:11], a[32:33], a[0:1], 0   // 000000007BAC: D3F30008 1A020120
	buffer_load_dword v27, v23, s[32:35], 0 offen              // 000000007BB4: E0501000 80081B17
	buffer_load_dwordx4 a[96:99], v40, s[84:87], 0 offen       // 000000007BBC: E05C1000 80956028
	v_mfma_f32_16x16x32_fp8_fp8 v[8:11], a[34:35], a[2:3], v[8:11]// 000000007BC4: D3F30008 1C220522
	v_mfma_f32_16x16x32_fp8_fp8 v[8:11], a[36:37], a[4:5], v[8:11]// 000000007BCC: D3F30008 1C220924
	v_mfma_f32_16x16x32_fp8_fp8 v[8:11], a[38:39], a[6:7], v[8:11]// 000000007BD4: D3F30008 1C220D26
	v_mul_f32_dpp v6, v24, v35 row_newbcast:0 row_mask:0xf bank_mask:0xf// 000000007BDC: 0A0C46FA FF015018
	v_mfma_f32_16x16x32_fp8_fp8 v[12:15], a[32:33], a[8:9], 0  // 000000007BE4: D3F3000C 1A021120
	buffer_load_dwordx4 a[100:103], v40, s[84:87], 0 offen offset:1024// 000000007BEC: E05C1400 80956428
	v_mfma_f32_16x16x32_fp8_fp8 v[12:15], a[34:35], a[10:11], v[12:15]// 000000007BF4: D3F3000C 1C321522
	v_mfma_f32_16x16x32_fp8_fp8 v[12:15], a[36:37], a[12:13], v[12:15]// 000000007BFC: D3F3000C 1C321924
	v_mfma_f32_16x16x32_fp8_fp8 v[12:15], a[38:39], a[14:15], v[12:15]// 000000007C04: D3F3000C 1C321D26
	v_fma_f32 v48, v8, v4, v48                                 // 000000007C0C: D1CB0030 04C20908
	v_fma_f32 v49, v9, v4, v49                                 // 000000007C14: D1CB0031 04C60909
	v_fma_f32 v50, v10, v4, v50                                // 000000007C1C: D1CB0032 04CA090A
	v_fma_f32 v51, v11, v4, v51                                // 000000007C24: D1CB0033 04CE090B
	s_waitcnt vmcnt(15)                                        // 000000007C2C: BF8C0F7F
	v_mul_f32_dpp v4, v24, v34 row_newbcast:0 row_mask:0xf bank_mask:0xf// 000000007C30: 0A0844FA FF015018
	v_mfma_f32_16x16x32_fp8_fp8 v[8:11], a[40:41], a[0:1], 0   // 000000007C38: D3F30008 1A020128
	buffer_load_dwordx4 a[104:107], v41, s[84:87], 0 offen     // 000000007C40: E05C1000 80956829
	v_mfma_f32_16x16x32_fp8_fp8 v[8:11], a[42:43], a[2:3], v[8:11]// 000000007C48: D3F30008 1C22052A
	v_mfma_f32_16x16x32_fp8_fp8 v[8:11], a[44:45], a[4:5], v[8:11]// 000000007C50: D3F30008 1C22092C
	v_mfma_f32_16x16x32_fp8_fp8 v[8:11], a[46:47], a[6:7], v[8:11]// 000000007C58: D3F30008 1C220D2E
	v_fma_f32 v52, v12, v6, v52                                // 000000007C60: D1CB0034 04D20D0C
	v_fma_f32 v53, v13, v6, v53                                // 000000007C68: D1CB0035 04D60D0D
	v_fma_f32 v54, v14, v6, v54                                // 000000007C70: D1CB0036 04DA0D0E
	v_fma_f32 v55, v15, v6, v55                                // 000000007C78: D1CB0037 04DE0D0F
	v_mul_f32_dpp v6, v24, v35 row_newbcast:0 row_mask:0xf bank_mask:0xf// 000000007C80: 0A0C46FA FF015018
	v_mfma_f32_16x16x32_fp8_fp8 v[12:15], a[40:41], a[8:9], 0  // 000000007C88: D3F3000C 1A021128
	buffer_load_dwordx4 a[108:111], v41, s[84:87], 0 offen offset:1024// 000000007C90: E05C1400 80956C29
	v_mfma_f32_16x16x32_fp8_fp8 v[12:15], a[42:43], a[10:11], v[12:15]// 000000007C98: D3F3000C 1C32152A
	v_mfma_f32_16x16x32_fp8_fp8 v[12:15], a[44:45], a[12:13], v[12:15]// 000000007CA0: D3F3000C 1C32192C
	v_mfma_f32_16x16x32_fp8_fp8 v[12:15], a[46:47], a[14:15], v[12:15]// 000000007CA8: D3F3000C 1C321D2E
	v_fma_f32 v56, v8, v4, v56                                 // 000000007CB0: D1CB0038 04E20908
	v_fma_f32 v57, v9, v4, v57                                 // 000000007CB8: D1CB0039 04E60909
	v_fma_f32 v58, v10, v4, v58                                // 000000007CC0: D1CB003A 04EA090A
	v_fma_f32 v59, v11, v4, v59                                // 000000007CC8: D1CB003B 04EE090B
	s_waitcnt vmcnt(15)                                        // 000000007CD0: BF8C0F7F
	v_mul_f32_dpp v4, v24, v34 row_newbcast:1 row_mask:0xf bank_mask:0xf// 000000007CD4: 0A0844FA FF015118
	v_mfma_f32_16x16x32_fp8_fp8 v[8:11], a[48:49], a[0:1], 0   // 000000007CDC: D3F30008 1A020130
	buffer_load_dwordx4 a[112:115], v42, s[84:87], 0 offen     // 000000007CE4: E05C1000 8095702A
	v_mfma_f32_16x16x32_fp8_fp8 v[8:11], a[50:51], a[2:3], v[8:11]// 000000007CEC: D3F30008 1C220532
	v_mfma_f32_16x16x32_fp8_fp8 v[8:11], a[52:53], a[4:5], v[8:11]// 000000007CF4: D3F30008 1C220934
	v_mfma_f32_16x16x32_fp8_fp8 v[8:11], a[54:55], a[6:7], v[8:11]// 000000007CFC: D3F30008 1C220D36
	v_fma_f32 v60, v12, v6, v60                                // 000000007D04: D1CB003C 04F20D0C
	v_fma_f32 v61, v13, v6, v61                                // 000000007D0C: D1CB003D 04F60D0D
	v_fma_f32 v62, v14, v6, v62                                // 000000007D14: D1CB003E 04FA0D0E
	v_fma_f32 v63, v15, v6, v63                                // 000000007D1C: D1CB003F 04FE0D0F
	v_mul_f32_dpp v6, v24, v35 row_newbcast:1 row_mask:0xf bank_mask:0xf// 000000007D24: 0A0C46FA FF015118
	v_mfma_f32_16x16x32_fp8_fp8 v[12:15], a[48:49], a[8:9], 0  // 000000007D2C: D3F3000C 1A021130
	buffer_load_dwordx4 a[116:119], v42, s[84:87], 0 offen offset:1024// 000000007D34: E05C1400 8095742A
	v_mfma_f32_16x16x32_fp8_fp8 v[12:15], a[50:51], a[10:11], v[12:15]// 000000007D3C: D3F3000C 1C321532
	v_mfma_f32_16x16x32_fp8_fp8 v[12:15], a[52:53], a[12:13], v[12:15]// 000000007D44: D3F3000C 1C321934
	v_mfma_f32_16x16x32_fp8_fp8 v[12:15], a[54:55], a[14:15], v[12:15]// 000000007D4C: D3F3000C 1C321D36
	v_fma_f32 v64, v8, v4, v64                                 // 000000007D54: D1CB0040 05020908
	v_fma_f32 v65, v9, v4, v65                                 // 000000007D5C: D1CB0041 05060909
	v_fma_f32 v66, v10, v4, v66                                // 000000007D64: D1CB0042 050A090A
	v_fma_f32 v67, v11, v4, v67                                // 000000007D6C: D1CB0043 050E090B
	s_waitcnt vmcnt(15)                                        // 000000007D74: BF8C0F7F
	v_mul_f32_dpp v4, v24, v34 row_newbcast:1 row_mask:0xf bank_mask:0xf// 000000007D78: 0A0844FA FF015118
	v_mfma_f32_16x16x32_fp8_fp8 v[8:11], a[56:57], a[0:1], 0   // 000000007D80: D3F30008 1A020138
	buffer_load_dwordx4 a[120:123], v43, s[84:87], 0 offen     // 000000007D88: E05C1000 8095782B
	v_mfma_f32_16x16x32_fp8_fp8 v[8:11], a[58:59], a[2:3], v[8:11]// 000000007D90: D3F30008 1C22053A
	v_mfma_f32_16x16x32_fp8_fp8 v[8:11], a[60:61], a[4:5], v[8:11]// 000000007D98: D3F30008 1C22093C
	v_mfma_f32_16x16x32_fp8_fp8 v[8:11], a[62:63], a[6:7], v[8:11]// 000000007DA0: D3F30008 1C220D3E
	v_fma_f32 v68, v12, v6, v68                                // 000000007DA8: D1CB0044 05120D0C
	v_fma_f32 v69, v13, v6, v69                                // 000000007DB0: D1CB0045 05160D0D
	v_fma_f32 v70, v14, v6, v70                                // 000000007DB8: D1CB0046 051A0D0E
	v_fma_f32 v71, v15, v6, v71                                // 000000007DC0: D1CB0047 051E0D0F
	v_mul_f32_dpp v6, v24, v35 row_newbcast:1 row_mask:0xf bank_mask:0xf// 000000007DC8: 0A0C46FA FF015118
	v_mfma_f32_16x16x32_fp8_fp8 v[12:15], a[56:57], a[8:9], 0  // 000000007DD0: D3F3000C 1A021138
	buffer_load_dwordx4 a[124:127], v43, s[84:87], 0 offen offset:1024// 000000007DD8: E05C1400 80957C2B
	v_mfma_f32_16x16x32_fp8_fp8 v[12:15], a[58:59], a[10:11], v[12:15]// 000000007DE0: D3F3000C 1C32153A
	v_mfma_f32_16x16x32_fp8_fp8 v[12:15], a[60:61], a[12:13], v[12:15]// 000000007DE8: D3F3000C 1C32193C
	v_mfma_f32_16x16x32_fp8_fp8 v[12:15], a[62:63], a[14:15], v[12:15]// 000000007DF0: D3F3000C 1C321D3E
	v_fma_f32 v72, v8, v4, v72                                 // 000000007DF8: D1CB0048 05220908
	v_fma_f32 v73, v9, v4, v73                                 // 000000007E00: D1CB0049 05260909
	v_fma_f32 v74, v10, v4, v74                                // 000000007E08: D1CB004A 052A090A
	v_fma_f32 v75, v11, v4, v75                                // 000000007E10: D1CB004B 052E090B
	s_waitcnt vmcnt(15)                                        // 000000007E18: BF8C0F7F
	v_mul_f32_dpp v4, v24, v34 row_newbcast:2 row_mask:0xf bank_mask:0xf// 000000007E1C: 0A0844FA FF015218
	v_mfma_f32_16x16x32_fp8_fp8 v[8:11], a[64:65], a[0:1], 0   // 000000007E24: D3F30008 1A020140
	buffer_load_dwordx4 a[128:131], v44, s[84:87], 0 offen     // 000000007E2C: E05C1000 8095802C
	v_mfma_f32_16x16x32_fp8_fp8 v[8:11], a[66:67], a[2:3], v[8:11]// 000000007E34: D3F30008 1C220542
	v_mfma_f32_16x16x32_fp8_fp8 v[8:11], a[68:69], a[4:5], v[8:11]// 000000007E3C: D3F30008 1C220944
	v_mfma_f32_16x16x32_fp8_fp8 v[8:11], a[70:71], a[6:7], v[8:11]// 000000007E44: D3F30008 1C220D46
	v_fma_f32 v76, v12, v6, v76                                // 000000007E4C: D1CB004C 05320D0C
	v_fma_f32 v77, v13, v6, v77                                // 000000007E54: D1CB004D 05360D0D
	v_fma_f32 v78, v14, v6, v78                                // 000000007E5C: D1CB004E 053A0D0E
	v_fma_f32 v79, v15, v6, v79                                // 000000007E64: D1CB004F 053E0D0F
	v_mul_f32_dpp v6, v24, v35 row_newbcast:2 row_mask:0xf bank_mask:0xf// 000000007E6C: 0A0C46FA FF015218
	v_mfma_f32_16x16x32_fp8_fp8 v[12:15], a[64:65], a[8:9], 0  // 000000007E74: D3F3000C 1A021140
	buffer_load_dwordx4 a[132:135], v44, s[84:87], 0 offen offset:1024// 000000007E7C: E05C1400 8095842C
	v_mfma_f32_16x16x32_fp8_fp8 v[12:15], a[66:67], a[10:11], v[12:15]// 000000007E84: D3F3000C 1C321542
	v_mfma_f32_16x16x32_fp8_fp8 v[12:15], a[68:69], a[12:13], v[12:15]// 000000007E8C: D3F3000C 1C321944
	v_mfma_f32_16x16x32_fp8_fp8 v[12:15], a[70:71], a[14:15], v[12:15]// 000000007E94: D3F3000C 1C321D46
	v_fma_f32 v80, v8, v4, v80                                 // 000000007E9C: D1CB0050 05420908
	v_fma_f32 v81, v9, v4, v81                                 // 000000007EA4: D1CB0051 05460909
	v_fma_f32 v82, v10, v4, v82                                // 000000007EAC: D1CB0052 054A090A
	v_fma_f32 v83, v11, v4, v83                                // 000000007EB4: D1CB0053 054E090B
	s_waitcnt vmcnt(15)                                        // 000000007EBC: BF8C0F7F
	v_mul_f32_dpp v4, v24, v34 row_newbcast:2 row_mask:0xf bank_mask:0xf// 000000007EC0: 0A0844FA FF015218
	v_mfma_f32_16x16x32_fp8_fp8 v[8:11], a[72:73], a[0:1], 0   // 000000007EC8: D3F30008 1A020148
	buffer_load_dwordx4 a[136:139], v45, s[84:87], 0 offen     // 000000007ED0: E05C1000 8095882D
	v_mfma_f32_16x16x32_fp8_fp8 v[8:11], a[74:75], a[2:3], v[8:11]// 000000007ED8: D3F30008 1C22054A
	v_mfma_f32_16x16x32_fp8_fp8 v[8:11], a[76:77], a[4:5], v[8:11]// 000000007EE0: D3F30008 1C22094C
	v_mfma_f32_16x16x32_fp8_fp8 v[8:11], a[78:79], a[6:7], v[8:11]// 000000007EE8: D3F30008 1C220D4E
	v_fma_f32 v84, v12, v6, v84                                // 000000007EF0: D1CB0054 05520D0C
	v_fma_f32 v85, v13, v6, v85                                // 000000007EF8: D1CB0055 05560D0D
	v_fma_f32 v86, v14, v6, v86                                // 000000007F00: D1CB0056 055A0D0E
	v_fma_f32 v87, v15, v6, v87                                // 000000007F08: D1CB0057 055E0D0F
	v_mul_f32_dpp v6, v24, v35 row_newbcast:2 row_mask:0xf bank_mask:0xf// 000000007F10: 0A0C46FA FF015218
	v_mfma_f32_16x16x32_fp8_fp8 v[12:15], a[72:73], a[8:9], 0  // 000000007F18: D3F3000C 1A021148
	buffer_load_dwordx4 a[140:143], v45, s[84:87], 0 offen offset:1024// 000000007F20: E05C1400 80958C2D
	v_mfma_f32_16x16x32_fp8_fp8 v[12:15], a[74:75], a[10:11], v[12:15]// 000000007F28: D3F3000C 1C32154A
	v_mfma_f32_16x16x32_fp8_fp8 v[12:15], a[76:77], a[12:13], v[12:15]// 000000007F30: D3F3000C 1C32194C
	v_mfma_f32_16x16x32_fp8_fp8 v[12:15], a[78:79], a[14:15], v[12:15]// 000000007F38: D3F3000C 1C321D4E
	v_fma_f32 v88, v8, v4, v88                                 // 000000007F40: D1CB0058 05620908
	v_fma_f32 v89, v9, v4, v89                                 // 000000007F48: D1CB0059 05660909
	v_fma_f32 v90, v10, v4, v90                                // 000000007F50: D1CB005A 056A090A
	v_fma_f32 v91, v11, v4, v91                                // 000000007F58: D1CB005B 056E090B
	s_waitcnt vmcnt(15)                                        // 000000007F60: BF8C0F7F
	v_mul_f32_dpp v4, v24, v34 row_newbcast:3 row_mask:0xf bank_mask:0xf// 000000007F64: 0A0844FA FF015318
	v_mfma_f32_16x16x32_fp8_fp8 v[8:11], a[80:81], a[0:1], 0   // 000000007F6C: D3F30008 1A020150
	buffer_load_dwordx4 a[144:147], v46, s[84:87], 0 offen     // 000000007F74: E05C1000 8095902E
	v_mfma_f32_16x16x32_fp8_fp8 v[8:11], a[82:83], a[2:3], v[8:11]// 000000007F7C: D3F30008 1C220552
	v_mfma_f32_16x16x32_fp8_fp8 v[8:11], a[84:85], a[4:5], v[8:11]// 000000007F84: D3F30008 1C220954
	v_mfma_f32_16x16x32_fp8_fp8 v[8:11], a[86:87], a[6:7], v[8:11]// 000000007F8C: D3F30008 1C220D56
	v_fma_f32 v92, v12, v6, v92                                // 000000007F94: D1CB005C 05720D0C
	v_fma_f32 v93, v13, v6, v93                                // 000000007F9C: D1CB005D 05760D0D
	v_fma_f32 v94, v14, v6, v94                                // 000000007FA4: D1CB005E 057A0D0E
	v_fma_f32 v95, v15, v6, v95                                // 000000007FAC: D1CB005F 057E0D0F
	v_mul_f32_dpp v6, v24, v35 row_newbcast:3 row_mask:0xf bank_mask:0xf// 000000007FB4: 0A0C46FA FF015318
	v_mfma_f32_16x16x32_fp8_fp8 v[12:15], a[80:81], a[8:9], 0  // 000000007FBC: D3F3000C 1A021150
	buffer_load_dwordx4 a[148:151], v46, s[84:87], 0 offen offset:1024// 000000007FC4: E05C1400 8095942E
	v_mfma_f32_16x16x32_fp8_fp8 v[12:15], a[82:83], a[10:11], v[12:15]// 000000007FCC: D3F3000C 1C321552
	v_mfma_f32_16x16x32_fp8_fp8 v[12:15], a[84:85], a[12:13], v[12:15]// 000000007FD4: D3F3000C 1C321954
	v_mfma_f32_16x16x32_fp8_fp8 v[12:15], a[86:87], a[14:15], v[12:15]// 000000007FDC: D3F3000C 1C321D56
	v_fma_f32 v96, v8, v4, v96                                 // 000000007FE4: D1CB0060 05820908
	v_fma_f32 v97, v9, v4, v97                                 // 000000007FEC: D1CB0061 05860909
	v_fma_f32 v98, v10, v4, v98                                // 000000007FF4: D1CB0062 058A090A
	v_fma_f32 v99, v11, v4, v99                                // 000000007FFC: D1CB0063 058E090B
	s_waitcnt vmcnt(15)                                        // 000000008004: BF8C0F7F
	v_mul_f32_dpp v4, v24, v34 row_newbcast:3 row_mask:0xf bank_mask:0xf// 000000008008: 0A0844FA FF015318
	v_mfma_f32_16x16x32_fp8_fp8 v[8:11], a[88:89], a[0:1], 0   // 000000008010: D3F30008 1A020158
	buffer_load_dwordx4 a[152:155], v47, s[84:87], 0 offen     // 000000008018: E05C1000 8095982F
	v_mfma_f32_16x16x32_fp8_fp8 v[8:11], a[90:91], a[2:3], v[8:11]// 000000008020: D3F30008 1C22055A
	v_mfma_f32_16x16x32_fp8_fp8 v[8:11], a[92:93], a[4:5], v[8:11]// 000000008028: D3F30008 1C22095C
	v_mfma_f32_16x16x32_fp8_fp8 v[8:11], a[94:95], a[6:7], v[8:11]// 000000008030: D3F30008 1C220D5E
	v_fma_f32 v100, v12, v6, v100                              // 000000008038: D1CB0064 05920D0C
	v_fma_f32 v101, v13, v6, v101                              // 000000008040: D1CB0065 05960D0D
	v_fma_f32 v102, v14, v6, v102                              // 000000008048: D1CB0066 059A0D0E
	v_fma_f32 v103, v15, v6, v103                              // 000000008050: D1CB0067 059E0D0F
	v_mul_f32_dpp v6, v24, v35 row_newbcast:3 row_mask:0xf bank_mask:0xf// 000000008058: 0A0C46FA FF015318
	v_mfma_f32_16x16x32_fp8_fp8 v[12:15], a[88:89], a[8:9], 0  // 000000008060: D3F3000C 1A021158
	buffer_load_dwordx4 a[156:159], v47, s[84:87], 0 offen offset:1024// 000000008068: E05C1400 80959C2F
	buffer_load_dword v36, s[20:23], 0 offen lds               // 000000008070: E0511000 80050024
	s_add_u32 m0, 0x100, s48                                   // 000000008078: 807C30FF 00000100
	v_mfma_f32_16x16x32_fp8_fp8 v[12:15], a[90:91], a[10:11], v[12:15]// 000000008080: D3F3000C 1C32155A
	s_add_u32 s60, 0x80, s80                                   // 000000008088: 803C50FF 00000080
	s_cmp_lt_u32 s60, s81                                      // 000000008090: BF0A513C
	s_cselect_b32 s83, s83, 0                                  // 000000008094: 85538053
	s_cselect_b32 s4, s4, 0                                    // 000000008098: 85048004
	v_mfma_f32_16x16x32_fp8_fp8 v[12:15], a[92:93], a[12:13], v[12:15]// 00000000809C: D3F3000C 1C32195C
	buffer_load_dword v37, s[20:23], 0 offen lds               // 0000000080A4: E0511000 80050025
	s_add_u32 m0, 0x200, s48                                   // 0000000080AC: 807C30FF 00000200
	s_add_u32 s32, s4, s32                                     // 0000000080B4: 80202004
	s_addc_u32 s33, 0, s33                                     // 0000000080B8: 82212180
	v_mfma_f32_16x16x32_fp8_fp8 v[12:15], a[94:95], a[14:15], v[12:15]// 0000000080BC: D3F3000C 1C321D5E
	v_fma_f32 v104, v8, v4, v104                               // 0000000080C4: D1CB0068 05A20908
	v_fma_f32 v105, v9, v4, v105                               // 0000000080CC: D1CB0069 05A60909
	v_fma_f32 v106, v10, v4, v106                              // 0000000080D4: D1CB006A 05AA090A
	v_fma_f32 v107, v11, v4, v107                              // 0000000080DC: D1CB006B 05AE090B
	v_fma_f32 v108, v12, v6, v108                              // 0000000080E4: D1CB006C 05B20D0C
	v_fma_f32 v109, v13, v6, v109                              // 0000000080EC: D1CB006D 05B60D0D
	v_fma_f32 v110, v14, v6, v110                              // 0000000080F4: D1CB006E 05BA0D0E
	v_fma_f32 v111, v15, v6, v111                              // 0000000080FC: D1CB006F 05BE0D0F
	buffer_load_dword v38, s[20:23], 0 offen lds               // 000000008104: E0511000 80050026
	s_add_u32 m0, 0x300, s48                                   // 00000000810C: 807C30FF 00000300
	buffer_load_dword v39, s[20:23], 0 offen lds               // 000000008114: E0511000 80050027
	s_add_u32 m0, 0, s49                                       // 00000000811C: 807C3180
	buffer_load_dword v30, v28, s[28:31], 0 offen              // 000000008120: E0501000 80071E1C
	buffer_load_dword v31, v29, s[28:31], 0 offen              // 000000008128: E0501000 80071F1D
	s_waitcnt vmcnt(6)                                         // 000000008130: BF8C0F76
	v_mul_f32_dpp v4, v27, v34 row_newbcast:0 row_mask:0xf bank_mask:0xf// 000000008134: 0A0844FA FF01501B
	v_mfma_f32_16x16x32_fp8_fp8 v[8:11], a[96:97], a[0:1], 0   // 00000000813C: D3F30008 1A020160
	buffer_load_dword v24, v22, s[32:35], 0 offen              // 000000008144: E0501000 80081816
	buffer_load_dwordx4 a[32:35], v40, s[24:27], 0 offen       // 00000000814C: E05C1000 80862028
	v_mfma_f32_16x16x32_fp8_fp8 v[8:11], a[98:99], a[2:3], v[8:11]// 000000008154: D3F30008 1C220562
	v_mfma_f32_16x16x32_fp8_fp8 v[8:11], a[100:101], a[4:5], v[8:11]// 00000000815C: D3F30008 1C220964
	ds_read_b128 a[16:19], v2 offset:4224                      // 000000008164: DBFE1080 10000002
	ds_read_b128 a[20:23], v2 offset:4288                      // 00000000816C: DBFE10C0 14000002
	v_mfma_f32_16x16x32_fp8_fp8 v[8:11], a[102:103], a[6:7], v[8:11]// 000000008174: D3F30008 1C220D66
	v_mfma_f32_16x16x32_fp8_fp8 v[12:15], a[104:105], a[0:1], 0// 00000000817C: D3F3000C 1A020168
	buffer_load_dwordx4 a[36:39], v40, s[24:27], 0 offen offset:1024// 000000008184: E05C1400 80862428
	v_mfma_f32_16x16x32_fp8_fp8 v[12:15], a[106:107], a[2:3], v[12:15]// 00000000818C: D3F3000C 1C32056A
	v_mfma_f32_16x16x32_fp8_fp8 v[12:15], a[108:109], a[4:5], v[12:15]// 000000008194: D3F3000C 1C32096C
	ds_read_b128 a[24:27], v2 offset:4736                      // 00000000819C: DBFE1280 18000002
	ds_read_b128 a[28:31], v2 offset:4800                      // 0000000081A4: DBFE12C0 1C000002
	v_mfma_f32_16x16x32_fp8_fp8 v[12:15], a[110:111], a[6:7], v[12:15]// 0000000081AC: D3F3000C 1C320D6E
	v_fma_f32 v112, v8, v4, v112                               // 0000000081B4: D1CB0070 05C20908
	v_fma_f32 v113, v9, v4, v113                               // 0000000081BC: D1CB0071 05C60909
	v_fma_f32 v114, v10, v4, v114                              // 0000000081C4: D1CB0072 05CA090A
	v_fma_f32 v115, v11, v4, v115                              // 0000000081CC: D1CB0073 05CE090B
	v_mul_f32_dpp v6, v27, v34 row_newbcast:1 row_mask:0xf bank_mask:0xf// 0000000081D4: 0A0C44FA FF01511B
	v_mfma_f32_16x16x32_fp8_fp8 v[8:11], a[112:113], a[0:1], 0 // 0000000081DC: D3F30008 1A020170
	buffer_load_dwordx4 a[40:43], v41, s[24:27], 0 offen       // 0000000081E4: E05C1000 80862829
	v_mfma_f32_16x16x32_fp8_fp8 v[8:11], a[114:115], a[2:3], v[8:11]// 0000000081EC: D3F30008 1C220572
	v_mfma_f32_16x16x32_fp8_fp8 v[8:11], a[116:117], a[4:5], v[8:11]// 0000000081F4: D3F30008 1C220974
	v_mfma_f32_16x16x32_fp8_fp8 v[8:11], a[118:119], a[6:7], v[8:11]// 0000000081FC: D3F30008 1C220D76
	v_fma_f32 v120, v12, v4, v120                              // 000000008204: D1CB0078 05E2090C
	v_fma_f32 v121, v13, v4, v121                              // 00000000820C: D1CB0079 05E6090D
	v_fma_f32 v122, v14, v4, v122                              // 000000008214: D1CB007A 05EA090E
	v_fma_f32 v123, v15, v4, v123                              // 00000000821C: D1CB007B 05EE090F
	v_mfma_f32_16x16x32_fp8_fp8 v[12:15], a[120:121], a[0:1], 0// 000000008224: D3F3000C 1A020178
	buffer_load_dwordx4 a[44:47], v41, s[24:27], 0 offen offset:1024// 00000000822C: E05C1400 80862C29
	v_mfma_f32_16x16x32_fp8_fp8 v[12:15], a[122:123], a[2:3], v[12:15]// 000000008234: D3F3000C 1C32057A
	v_mfma_f32_16x16x32_fp8_fp8 v[12:15], a[124:125], a[4:5], v[12:15]// 00000000823C: D3F3000C 1C32097C
	v_mfma_f32_16x16x32_fp8_fp8 v[12:15], a[126:127], a[6:7], v[12:15]// 000000008244: D3F3000C 1C320D7E
	v_fma_f32 v128, v8, v6, v128                               // 00000000824C: D1CB0080 06020D08
	v_fma_f32 v129, v9, v6, v129                               // 000000008254: D1CB0081 06060D09
	v_fma_f32 v130, v10, v6, v130                              // 00000000825C: D1CB0082 060A0D0A
	v_fma_f32 v131, v11, v6, v131                              // 000000008264: D1CB0083 060E0D0B
	v_mul_f32_dpp v4, v27, v34 row_newbcast:2 row_mask:0xf bank_mask:0xf// 00000000826C: 0A0844FA FF01521B
	v_mfma_f32_16x16x32_fp8_fp8 v[8:11], a[128:129], a[0:1], 0 // 000000008274: D3F30008 1A020180
	buffer_load_dwordx4 a[48:51], v42, s[24:27], 0 offen       // 00000000827C: E05C1000 8086302A
	v_mfma_f32_16x16x32_fp8_fp8 v[8:11], a[130:131], a[2:3], v[8:11]// 000000008284: D3F30008 1C220582
	v_mfma_f32_16x16x32_fp8_fp8 v[8:11], a[132:133], a[4:5], v[8:11]// 00000000828C: D3F30008 1C220984
	v_mfma_f32_16x16x32_fp8_fp8 v[8:11], a[134:135], a[6:7], v[8:11]// 000000008294: D3F30008 1C220D86
	v_fma_f32 v136, v12, v6, v136                              // 00000000829C: D1CB0088 06220D0C
	v_fma_f32 v137, v13, v6, v137                              // 0000000082A4: D1CB0089 06260D0D
	v_fma_f32 v138, v14, v6, v138                              // 0000000082AC: D1CB008A 062A0D0E
	v_fma_f32 v139, v15, v6, v139                              // 0000000082B4: D1CB008B 062E0D0F
	v_mfma_f32_16x16x32_fp8_fp8 v[12:15], a[136:137], a[0:1], 0// 0000000082BC: D3F3000C 1A020188
	buffer_load_dwordx4 a[52:55], v42, s[24:27], 0 offen offset:1024// 0000000082C4: E05C1400 8086342A
	v_mfma_f32_16x16x32_fp8_fp8 v[12:15], a[138:139], a[2:3], v[12:15]// 0000000082CC: D3F3000C 1C32058A
	v_mfma_f32_16x16x32_fp8_fp8 v[12:15], a[140:141], a[4:5], v[12:15]// 0000000082D4: D3F3000C 1C32098C
	v_mfma_f32_16x16x32_fp8_fp8 v[12:15], a[142:143], a[6:7], v[12:15]// 0000000082DC: D3F3000C 1C320D8E
	v_fma_f32 v144, v8, v4, v144                               // 0000000082E4: D1CB0090 06420908
	v_fma_f32 v145, v9, v4, v145                               // 0000000082EC: D1CB0091 06460909
	v_fma_f32 v146, v10, v4, v146                              // 0000000082F4: D1CB0092 064A090A
	v_fma_f32 v147, v11, v4, v147                              // 0000000082FC: D1CB0093 064E090B
	v_mul_f32_dpp v6, v27, v34 row_newbcast:3 row_mask:0xf bank_mask:0xf// 000000008304: 0A0C44FA FF01531B
	v_mfma_f32_16x16x32_fp8_fp8 v[8:11], a[144:145], a[0:1], 0 // 00000000830C: D3F30008 1A020190
	buffer_load_dwordx4 a[56:59], v43, s[24:27], 0 offen       // 000000008314: E05C1000 8086382B
	v_mfma_f32_16x16x32_fp8_fp8 v[8:11], a[146:147], a[2:3], v[8:11]// 00000000831C: D3F30008 1C220592
	v_mfma_f32_16x16x32_fp8_fp8 v[8:11], a[148:149], a[4:5], v[8:11]// 000000008324: D3F30008 1C220994
	v_mfma_f32_16x16x32_fp8_fp8 v[8:11], a[150:151], a[6:7], v[8:11]// 00000000832C: D3F30008 1C220D96
	v_fma_f32 v152, v12, v4, v152                              // 000000008334: D1CB0098 0662090C
	v_fma_f32 v153, v13, v4, v153                              // 00000000833C: D1CB0099 0666090D
	v_fma_f32 v154, v14, v4, v154                              // 000000008344: D1CB009A 066A090E
	v_fma_f32 v155, v15, v4, v155                              // 00000000834C: D1CB009B 066E090F
	v_mfma_f32_16x16x32_fp8_fp8 v[12:15], a[152:153], a[0:1], 0// 000000008354: D3F3000C 1A020198
	buffer_load_dwordx4 a[60:63], v43, s[24:27], 0 offen offset:1024// 00000000835C: E05C1400 80863C2B
	v_mfma_f32_16x16x32_fp8_fp8 v[12:15], a[154:155], a[2:3], v[12:15]// 000000008364: D3F3000C 1C32059A
	v_mfma_f32_16x16x32_fp8_fp8 v[12:15], a[156:157], a[4:5], v[12:15]// 00000000836C: D3F3000C 1C32099C
	v_mfma_f32_16x16x32_fp8_fp8 v[12:15], a[158:159], a[6:7], v[12:15]// 000000008374: D3F3000C 1C320D9E
	v_fma_f32 v160, v8, v6, v160                               // 00000000837C: D1CB00A0 06820D08
	v_fma_f32 v161, v9, v6, v161                               // 000000008384: D1CB00A1 06860D09
	v_fma_f32 v162, v10, v6, v162                              // 00000000838C: D1CB00A2 068A0D0A
	v_fma_f32 v163, v11, v6, v163                              // 000000008394: D1CB00A3 068E0D0B
	v_mul_f32_dpp v4, v27, v35 row_newbcast:0 row_mask:0xf bank_mask:0xf// 00000000839C: 0A0846FA FF01501B
	v_mfma_f32_16x16x32_fp8_fp8 v[8:11], a[96:97], a[8:9], 0   // 0000000083A4: D3F30008 1A021160
	buffer_load_dwordx4 a[64:67], v44, s[24:27], 0 offen       // 0000000083AC: E05C1000 8086402C
	v_mfma_f32_16x16x32_fp8_fp8 v[8:11], a[98:99], a[10:11], v[8:11]// 0000000083B4: D3F30008 1C221562
	v_mfma_f32_16x16x32_fp8_fp8 v[8:11], a[100:101], a[12:13], v[8:11]// 0000000083BC: D3F30008 1C221964
	v_mfma_f32_16x16x32_fp8_fp8 v[8:11], a[102:103], a[14:15], v[8:11]// 0000000083C4: D3F30008 1C221D66
	v_fma_f32 v168, v12, v6, v168                              // 0000000083CC: D1CB00A8 06A20D0C
	v_fma_f32 v169, v13, v6, v169                              // 0000000083D4: D1CB00A9 06A60D0D
	v_fma_f32 v170, v14, v6, v170                              // 0000000083DC: D1CB00AA 06AA0D0E
	v_fma_f32 v171, v15, v6, v171                              // 0000000083E4: D1CB00AB 06AE0D0F
	v_mfma_f32_16x16x32_fp8_fp8 v[12:15], a[104:105], a[8:9], 0// 0000000083EC: D3F3000C 1A021168
	buffer_load_dwordx4 a[68:71], v44, s[24:27], 0 offen offset:1024// 0000000083F4: E05C1400 8086442C
	v_mfma_f32_16x16x32_fp8_fp8 v[12:15], a[106:107], a[10:11], v[12:15]// 0000000083FC: D3F3000C 1C32156A
	v_mfma_f32_16x16x32_fp8_fp8 v[12:15], a[108:109], a[12:13], v[12:15]// 000000008404: D3F3000C 1C32196C
	v_mfma_f32_16x16x32_fp8_fp8 v[12:15], a[110:111], a[14:15], v[12:15]// 00000000840C: D3F3000C 1C321D6E
	v_fma_f32 v116, v8, v4, v116                               // 000000008414: D1CB0074 05D20908
	v_fma_f32 v117, v9, v4, v117                               // 00000000841C: D1CB0075 05D60909
	v_fma_f32 v118, v10, v4, v118                              // 000000008424: D1CB0076 05DA090A
	v_fma_f32 v119, v11, v4, v119                              // 00000000842C: D1CB0077 05DE090B
	v_mul_f32_dpp v6, v27, v35 row_newbcast:1 row_mask:0xf bank_mask:0xf// 000000008434: 0A0C46FA FF01511B
	v_mfma_f32_16x16x32_fp8_fp8 v[8:11], a[112:113], a[8:9], 0 // 00000000843C: D3F30008 1A021170
	buffer_load_dwordx4 a[72:75], v45, s[24:27], 0 offen       // 000000008444: E05C1000 8086482D
	v_mfma_f32_16x16x32_fp8_fp8 v[8:11], a[114:115], a[10:11], v[8:11]// 00000000844C: D3F30008 1C221572
	v_mfma_f32_16x16x32_fp8_fp8 v[8:11], a[116:117], a[12:13], v[8:11]// 000000008454: D3F30008 1C221974
	v_mfma_f32_16x16x32_fp8_fp8 v[8:11], a[118:119], a[14:15], v[8:11]// 00000000845C: D3F30008 1C221D76
	v_fma_f32 v124, v12, v4, v124                              // 000000008464: D1CB007C 05F2090C
	v_fma_f32 v125, v13, v4, v125                              // 00000000846C: D1CB007D 05F6090D
	v_fma_f32 v126, v14, v4, v126                              // 000000008474: D1CB007E 05FA090E
	v_fma_f32 v127, v15, v4, v127                              // 00000000847C: D1CB007F 05FE090F
	v_mfma_f32_16x16x32_fp8_fp8 v[12:15], a[120:121], a[8:9], 0// 000000008484: D3F3000C 1A021178
	buffer_load_dwordx4 a[76:79], v45, s[24:27], 0 offen offset:1024// 00000000848C: E05C1400 80864C2D
	v_mfma_f32_16x16x32_fp8_fp8 v[12:15], a[122:123], a[10:11], v[12:15]// 000000008494: D3F3000C 1C32157A
	v_mfma_f32_16x16x32_fp8_fp8 v[12:15], a[124:125], a[12:13], v[12:15]// 00000000849C: D3F3000C 1C32197C
	v_mfma_f32_16x16x32_fp8_fp8 v[12:15], a[126:127], a[14:15], v[12:15]// 0000000084A4: D3F3000C 1C321D7E
	v_fma_f32 v132, v8, v6, v132                               // 0000000084AC: D1CB0084 06120D08
	v_fma_f32 v133, v9, v6, v133                               // 0000000084B4: D1CB0085 06160D09
	v_fma_f32 v134, v10, v6, v134                              // 0000000084BC: D1CB0086 061A0D0A
	v_fma_f32 v135, v11, v6, v135                              // 0000000084C4: D1CB0087 061E0D0B
	v_mul_f32_dpp v4, v27, v35 row_newbcast:2 row_mask:0xf bank_mask:0xf// 0000000084CC: 0A0846FA FF01521B
	v_mfma_f32_16x16x32_fp8_fp8 v[8:11], a[128:129], a[8:9], 0 // 0000000084D4: D3F30008 1A021180
	buffer_load_dwordx4 a[80:83], v46, s[24:27], 0 offen       // 0000000084DC: E05C1000 8086502E
	v_mfma_f32_16x16x32_fp8_fp8 v[8:11], a[130:131], a[10:11], v[8:11]// 0000000084E4: D3F30008 1C221582
	v_mfma_f32_16x16x32_fp8_fp8 v[8:11], a[132:133], a[12:13], v[8:11]// 0000000084EC: D3F30008 1C221984
	v_mfma_f32_16x16x32_fp8_fp8 v[8:11], a[134:135], a[14:15], v[8:11]// 0000000084F4: D3F30008 1C221D86
	v_fma_f32 v140, v12, v6, v140                              // 0000000084FC: D1CB008C 06320D0C
	v_fma_f32 v141, v13, v6, v141                              // 000000008504: D1CB008D 06360D0D
	v_fma_f32 v142, v14, v6, v142                              // 00000000850C: D1CB008E 063A0D0E
	v_fma_f32 v143, v15, v6, v143                              // 000000008514: D1CB008F 063E0D0F
	v_mfma_f32_16x16x32_fp8_fp8 v[12:15], a[136:137], a[8:9], 0// 00000000851C: D3F3000C 1A021188
	buffer_load_dwordx4 a[84:87], v46, s[24:27], 0 offen offset:1024// 000000008524: E05C1400 8086542E
	v_mfma_f32_16x16x32_fp8_fp8 v[12:15], a[138:139], a[10:11], v[12:15]// 00000000852C: D3F3000C 1C32158A
	v_mfma_f32_16x16x32_fp8_fp8 v[12:15], a[140:141], a[12:13], v[12:15]// 000000008534: D3F3000C 1C32198C
	v_mfma_f32_16x16x32_fp8_fp8 v[12:15], a[142:143], a[14:15], v[12:15]// 00000000853C: D3F3000C 1C321D8E
	v_fma_f32 v148, v8, v4, v148                               // 000000008544: D1CB0094 06520908
	v_fma_f32 v149, v9, v4, v149                               // 00000000854C: D1CB0095 06560909
	v_fma_f32 v150, v10, v4, v150                              // 000000008554: D1CB0096 065A090A
	v_fma_f32 v151, v11, v4, v151                              // 00000000855C: D1CB0097 065E090B
	v_mul_f32_dpp v6, v27, v35 row_newbcast:3 row_mask:0xf bank_mask:0xf// 000000008564: 0A0C46FA FF01531B
	v_mfma_f32_16x16x32_fp8_fp8 v[8:11], a[144:145], a[8:9], 0 // 00000000856C: D3F30008 1A021190
	buffer_load_dwordx4 a[88:91], v47, s[24:27], 0 offen       // 000000008574: E05C1000 8086582F
	v_mfma_f32_16x16x32_fp8_fp8 v[8:11], a[146:147], a[10:11], v[8:11]// 00000000857C: D3F30008 1C221592
	v_mfma_f32_16x16x32_fp8_fp8 v[8:11], a[148:149], a[12:13], v[8:11]// 000000008584: D3F30008 1C221994
	s_add_u32 s60, 0x180, s80                                  // 00000000858C: 803C50FF 00000180
	s_cmp_lt_u32 s60, s81                                      // 000000008594: BF0A513C
	s_cselect_b32 s57, s57, 0                                  // 000000008598: 85398039
	s_cselect_b32 s3, s3, 0                                    // 00000000859C: 85038003
	v_mfma_f32_16x16x32_fp8_fp8 v[8:11], a[150:151], a[14:15], v[8:11]// 0000000085A0: D3F30008 1C221D96
	s_add_u32 s60, 0x100, s80                                  // 0000000085A8: 803C50FF 00000100
	s_cmp_lt_u32 s60, s81                                      // 0000000085B0: BF0A513C
	s_cselect_b32 s58, s58, 0                                  // 0000000085B4: 853A803A
	v_fma_f32 v156, v12, v4, v156                              // 0000000085B8: D1CB009C 0672090C
	v_fma_f32 v157, v13, v4, v157                              // 0000000085C0: D1CB009D 0676090D
	v_fma_f32 v158, v14, v4, v158                              // 0000000085C8: D1CB009E 067A090E
	v_fma_f32 v159, v15, v4, v159                              // 0000000085D0: D1CB009F 067E090F
	v_mfma_f32_16x16x32_fp8_fp8 v[12:15], a[152:153], a[8:9], 0// 0000000085D8: D3F3000C 1A021198
	buffer_load_dwordx4 a[92:95], v47, s[24:27], 0 offen offset:1024// 0000000085E0: E05C1400 80865C2F
	s_add_u32 s24, s58, s24                                    // 0000000085E8: 8018183A
	s_addc_u32 s25, 0, s25                                     // 0000000085EC: 82191980
	v_mfma_f32_16x16x32_fp8_fp8 v[12:15], a[154:155], a[10:11], v[12:15]// 0000000085F0: D3F3000C 1C32159A
	s_add_u32 s20, s57, s20                                    // 0000000085F8: 80141439
	s_addc_u32 s21, 0, s21                                     // 0000000085FC: 82151580
	s_add_u32 s28, s3, s28                                     // 000000008600: 801C1C03
	s_addc_u32 s29, 0, s29                                     // 000000008604: 821D1D80
	v_mfma_f32_16x16x32_fp8_fp8 v[12:15], a[156:157], a[12:13], v[12:15]// 000000008608: D3F3000C 1C32199C
	s_add_u32 s84, s83, s84                                    // 000000008610: 80545453
	s_addc_u32 s85, 0, s85                                     // 000000008614: 82555580
	v_mfma_f32_16x16x32_fp8_fp8 v[12:15], a[158:159], a[14:15], v[12:15]// 000000008618: D3F3000C 1C321D9E
	v_fma_f32 v164, v8, v6, v164                               // 000000008620: D1CB00A4 06920D08
	v_fma_f32 v165, v9, v6, v165                               // 000000008628: D1CB00A5 06960D09
	v_fma_f32 v166, v10, v6, v166                              // 000000008630: D1CB00A6 069A0D0A
	v_fma_f32 v167, v11, v6, v167                              // 000000008638: D1CB00A7 069E0D0B
	v_fma_f32 v172, v12, v6, v172                              // 000000008640: D1CB00AC 06B20D0C
	v_fma_f32 v173, v13, v6, v173                              // 000000008648: D1CB00AD 06B60D0D
	v_fma_f32 v174, v14, v6, v174                              // 000000008650: D1CB00AE 06BA0D0E
	v_fma_f32 v175, v15, v6, v175                              // 000000008658: D1CB00AF 06BE0D0F
	s_addk_i32 s80, 0x80                                       // 000000008660: B7500080
	s_cmp_lt_i32 s80, s81                                      // 000000008664: BF045150
	s_cbranch_scc0 label_19D5                                  // 000000008668: BF8402B7
	s_waitcnt vmcnt(14) lgkmcnt(0)                             // 00000000866C: BF8C007E
	s_barrier                                                  // 000000008670: BF8A0000
	v_mov_b32_e32 v34, v32                                     // 000000008674: 7E440320
	v_mov_b32_e32 v35, v33                                     // 000000008678: 7E460321
	v_mul_f32_dpp v4, v24, v34 row_newbcast:0 row_mask:0xf bank_mask:0xf// 00000000867C: 0A0844FA FF015018
	v_mfma_f32_16x16x32_fp8_fp8 v[8:11], a[32:33], a[16:17], 0 // 000000008684: D3F30008 1A022120
	buffer_load_dword v27, v23, s[32:35], 0 offen              // 00000000868C: E0501000 80081B17
	buffer_load_dwordx4 a[96:99], v40, s[84:87], 0 offen       // 000000008694: E05C1000 80956028
	v_mfma_f32_16x16x32_fp8_fp8 v[8:11], a[34:35], a[18:19], v[8:11]// 00000000869C: D3F30008 1C222522
	v_mfma_f32_16x16x32_fp8_fp8 v[8:11], a[36:37], a[20:21], v[8:11]// 0000000086A4: D3F30008 1C222924
	v_mfma_f32_16x16x32_fp8_fp8 v[8:11], a[38:39], a[22:23], v[8:11]// 0000000086AC: D3F30008 1C222D26
	v_mul_f32_dpp v6, v24, v35 row_newbcast:0 row_mask:0xf bank_mask:0xf// 0000000086B4: 0A0C46FA FF015018
	v_mfma_f32_16x16x32_fp8_fp8 v[12:15], a[32:33], a[24:25], 0// 0000000086BC: D3F3000C 1A023120
	buffer_load_dwordx4 a[100:103], v40, s[84:87], 0 offen offset:1024// 0000000086C4: E05C1400 80956428
	v_mfma_f32_16x16x32_fp8_fp8 v[12:15], a[34:35], a[26:27], v[12:15]// 0000000086CC: D3F3000C 1C323522
	v_mfma_f32_16x16x32_fp8_fp8 v[12:15], a[36:37], a[28:29], v[12:15]// 0000000086D4: D3F3000C 1C323924
	v_mfma_f32_16x16x32_fp8_fp8 v[12:15], a[38:39], a[30:31], v[12:15]// 0000000086DC: D3F3000C 1C323D26
	v_fma_f32 v48, v8, v4, v48                                 // 0000000086E4: D1CB0030 04C20908
	v_fma_f32 v49, v9, v4, v49                                 // 0000000086EC: D1CB0031 04C60909
	v_fma_f32 v50, v10, v4, v50                                // 0000000086F4: D1CB0032 04CA090A
	v_fma_f32 v51, v11, v4, v51                                // 0000000086FC: D1CB0033 04CE090B
	s_waitcnt vmcnt(15)                                        // 000000008704: BF8C0F7F
	v_mul_f32_dpp v4, v24, v34 row_newbcast:0 row_mask:0xf bank_mask:0xf// 000000008708: 0A0844FA FF015018
	v_mfma_f32_16x16x32_fp8_fp8 v[8:11], a[40:41], a[16:17], 0 // 000000008710: D3F30008 1A022128
	buffer_load_dwordx4 a[104:107], v41, s[84:87], 0 offen     // 000000008718: E05C1000 80956829
	v_mfma_f32_16x16x32_fp8_fp8 v[8:11], a[42:43], a[18:19], v[8:11]// 000000008720: D3F30008 1C22252A
	v_mfma_f32_16x16x32_fp8_fp8 v[8:11], a[44:45], a[20:21], v[8:11]// 000000008728: D3F30008 1C22292C
	v_mfma_f32_16x16x32_fp8_fp8 v[8:11], a[46:47], a[22:23], v[8:11]// 000000008730: D3F30008 1C222D2E
	v_fma_f32 v52, v12, v6, v52                                // 000000008738: D1CB0034 04D20D0C
	v_fma_f32 v53, v13, v6, v53                                // 000000008740: D1CB0035 04D60D0D
	v_fma_f32 v54, v14, v6, v54                                // 000000008748: D1CB0036 04DA0D0E
	v_fma_f32 v55, v15, v6, v55                                // 000000008750: D1CB0037 04DE0D0F
	v_mul_f32_dpp v6, v24, v35 row_newbcast:0 row_mask:0xf bank_mask:0xf// 000000008758: 0A0C46FA FF015018
	v_mfma_f32_16x16x32_fp8_fp8 v[12:15], a[40:41], a[24:25], 0// 000000008760: D3F3000C 1A023128
	buffer_load_dwordx4 a[108:111], v41, s[84:87], 0 offen offset:1024// 000000008768: E05C1400 80956C29
	v_mfma_f32_16x16x32_fp8_fp8 v[12:15], a[42:43], a[26:27], v[12:15]// 000000008770: D3F3000C 1C32352A
	v_mfma_f32_16x16x32_fp8_fp8 v[12:15], a[44:45], a[28:29], v[12:15]// 000000008778: D3F3000C 1C32392C
	v_mfma_f32_16x16x32_fp8_fp8 v[12:15], a[46:47], a[30:31], v[12:15]// 000000008780: D3F3000C 1C323D2E
	v_fma_f32 v56, v8, v4, v56                                 // 000000008788: D1CB0038 04E20908
	v_fma_f32 v57, v9, v4, v57                                 // 000000008790: D1CB0039 04E60909
	v_fma_f32 v58, v10, v4, v58                                // 000000008798: D1CB003A 04EA090A
	v_fma_f32 v59, v11, v4, v59                                // 0000000087A0: D1CB003B 04EE090B
	s_waitcnt vmcnt(15)                                        // 0000000087A8: BF8C0F7F
	v_mul_f32_dpp v4, v24, v34 row_newbcast:1 row_mask:0xf bank_mask:0xf// 0000000087AC: 0A0844FA FF015118
	v_mfma_f32_16x16x32_fp8_fp8 v[8:11], a[48:49], a[16:17], 0 // 0000000087B4: D3F30008 1A022130
	buffer_load_dwordx4 a[112:115], v42, s[84:87], 0 offen     // 0000000087BC: E05C1000 8095702A
	v_mfma_f32_16x16x32_fp8_fp8 v[8:11], a[50:51], a[18:19], v[8:11]// 0000000087C4: D3F30008 1C222532
	v_mfma_f32_16x16x32_fp8_fp8 v[8:11], a[52:53], a[20:21], v[8:11]// 0000000087CC: D3F30008 1C222934
	v_mfma_f32_16x16x32_fp8_fp8 v[8:11], a[54:55], a[22:23], v[8:11]// 0000000087D4: D3F30008 1C222D36
	v_fma_f32 v60, v12, v6, v60                                // 0000000087DC: D1CB003C 04F20D0C
	v_fma_f32 v61, v13, v6, v61                                // 0000000087E4: D1CB003D 04F60D0D
	v_fma_f32 v62, v14, v6, v62                                // 0000000087EC: D1CB003E 04FA0D0E
	v_fma_f32 v63, v15, v6, v63                                // 0000000087F4: D1CB003F 04FE0D0F
	v_mul_f32_dpp v6, v24, v35 row_newbcast:1 row_mask:0xf bank_mask:0xf// 0000000087FC: 0A0C46FA FF015118
	v_mfma_f32_16x16x32_fp8_fp8 v[12:15], a[48:49], a[24:25], 0// 000000008804: D3F3000C 1A023130
	buffer_load_dwordx4 a[116:119], v42, s[84:87], 0 offen offset:1024// 00000000880C: E05C1400 8095742A
	v_mfma_f32_16x16x32_fp8_fp8 v[12:15], a[50:51], a[26:27], v[12:15]// 000000008814: D3F3000C 1C323532
	v_mfma_f32_16x16x32_fp8_fp8 v[12:15], a[52:53], a[28:29], v[12:15]// 00000000881C: D3F3000C 1C323934
	v_mfma_f32_16x16x32_fp8_fp8 v[12:15], a[54:55], a[30:31], v[12:15]// 000000008824: D3F3000C 1C323D36
	v_fma_f32 v64, v8, v4, v64                                 // 00000000882C: D1CB0040 05020908
	v_fma_f32 v65, v9, v4, v65                                 // 000000008834: D1CB0041 05060909
	v_fma_f32 v66, v10, v4, v66                                // 00000000883C: D1CB0042 050A090A
	v_fma_f32 v67, v11, v4, v67                                // 000000008844: D1CB0043 050E090B
	s_waitcnt vmcnt(15)                                        // 00000000884C: BF8C0F7F
	v_mul_f32_dpp v4, v24, v34 row_newbcast:1 row_mask:0xf bank_mask:0xf// 000000008850: 0A0844FA FF015118
	v_mfma_f32_16x16x32_fp8_fp8 v[8:11], a[56:57], a[16:17], 0 // 000000008858: D3F30008 1A022138
	buffer_load_dwordx4 a[120:123], v43, s[84:87], 0 offen     // 000000008860: E05C1000 8095782B
	v_mfma_f32_16x16x32_fp8_fp8 v[8:11], a[58:59], a[18:19], v[8:11]// 000000008868: D3F30008 1C22253A
	v_mfma_f32_16x16x32_fp8_fp8 v[8:11], a[60:61], a[20:21], v[8:11]// 000000008870: D3F30008 1C22293C
	v_mfma_f32_16x16x32_fp8_fp8 v[8:11], a[62:63], a[22:23], v[8:11]// 000000008878: D3F30008 1C222D3E
	v_fma_f32 v68, v12, v6, v68                                // 000000008880: D1CB0044 05120D0C
	v_fma_f32 v69, v13, v6, v69                                // 000000008888: D1CB0045 05160D0D
	v_fma_f32 v70, v14, v6, v70                                // 000000008890: D1CB0046 051A0D0E
	v_fma_f32 v71, v15, v6, v71                                // 000000008898: D1CB0047 051E0D0F
	v_mul_f32_dpp v6, v24, v35 row_newbcast:1 row_mask:0xf bank_mask:0xf// 0000000088A0: 0A0C46FA FF015118
	v_mfma_f32_16x16x32_fp8_fp8 v[12:15], a[56:57], a[24:25], 0// 0000000088A8: D3F3000C 1A023138
	buffer_load_dwordx4 a[124:127], v43, s[84:87], 0 offen offset:1024// 0000000088B0: E05C1400 80957C2B
	v_mfma_f32_16x16x32_fp8_fp8 v[12:15], a[58:59], a[26:27], v[12:15]// 0000000088B8: D3F3000C 1C32353A
	v_mfma_f32_16x16x32_fp8_fp8 v[12:15], a[60:61], a[28:29], v[12:15]// 0000000088C0: D3F3000C 1C32393C
	v_mfma_f32_16x16x32_fp8_fp8 v[12:15], a[62:63], a[30:31], v[12:15]// 0000000088C8: D3F3000C 1C323D3E
	v_fma_f32 v72, v8, v4, v72                                 // 0000000088D0: D1CB0048 05220908
	v_fma_f32 v73, v9, v4, v73                                 // 0000000088D8: D1CB0049 05260909
	v_fma_f32 v74, v10, v4, v74                                // 0000000088E0: D1CB004A 052A090A
	v_fma_f32 v75, v11, v4, v75                                // 0000000088E8: D1CB004B 052E090B
	s_waitcnt vmcnt(15)                                        // 0000000088F0: BF8C0F7F
	v_mul_f32_dpp v4, v24, v34 row_newbcast:2 row_mask:0xf bank_mask:0xf// 0000000088F4: 0A0844FA FF015218
	v_mfma_f32_16x16x32_fp8_fp8 v[8:11], a[64:65], a[16:17], 0 // 0000000088FC: D3F30008 1A022140
	buffer_load_dwordx4 a[128:131], v44, s[84:87], 0 offen     // 000000008904: E05C1000 8095802C
	v_mfma_f32_16x16x32_fp8_fp8 v[8:11], a[66:67], a[18:19], v[8:11]// 00000000890C: D3F30008 1C222542
	v_mfma_f32_16x16x32_fp8_fp8 v[8:11], a[68:69], a[20:21], v[8:11]// 000000008914: D3F30008 1C222944
	v_mfma_f32_16x16x32_fp8_fp8 v[8:11], a[70:71], a[22:23], v[8:11]// 00000000891C: D3F30008 1C222D46
	v_fma_f32 v76, v12, v6, v76                                // 000000008924: D1CB004C 05320D0C
	v_fma_f32 v77, v13, v6, v77                                // 00000000892C: D1CB004D 05360D0D
	v_fma_f32 v78, v14, v6, v78                                // 000000008934: D1CB004E 053A0D0E
	v_fma_f32 v79, v15, v6, v79                                // 00000000893C: D1CB004F 053E0D0F
	v_mul_f32_dpp v6, v24, v35 row_newbcast:2 row_mask:0xf bank_mask:0xf// 000000008944: 0A0C46FA FF015218
	v_mfma_f32_16x16x32_fp8_fp8 v[12:15], a[64:65], a[24:25], 0// 00000000894C: D3F3000C 1A023140
	buffer_load_dwordx4 a[132:135], v44, s[84:87], 0 offen offset:1024// 000000008954: E05C1400 8095842C
	v_mfma_f32_16x16x32_fp8_fp8 v[12:15], a[66:67], a[26:27], v[12:15]// 00000000895C: D3F3000C 1C323542
	v_mfma_f32_16x16x32_fp8_fp8 v[12:15], a[68:69], a[28:29], v[12:15]// 000000008964: D3F3000C 1C323944
	v_mfma_f32_16x16x32_fp8_fp8 v[12:15], a[70:71], a[30:31], v[12:15]// 00000000896C: D3F3000C 1C323D46
	v_fma_f32 v80, v8, v4, v80                                 // 000000008974: D1CB0050 05420908
	v_fma_f32 v81, v9, v4, v81                                 // 00000000897C: D1CB0051 05460909
	v_fma_f32 v82, v10, v4, v82                                // 000000008984: D1CB0052 054A090A
	v_fma_f32 v83, v11, v4, v83                                // 00000000898C: D1CB0053 054E090B
	s_waitcnt vmcnt(15)                                        // 000000008994: BF8C0F7F
	v_mul_f32_dpp v4, v24, v34 row_newbcast:2 row_mask:0xf bank_mask:0xf// 000000008998: 0A0844FA FF015218
	v_mfma_f32_16x16x32_fp8_fp8 v[8:11], a[72:73], a[16:17], 0 // 0000000089A0: D3F30008 1A022148
	buffer_load_dwordx4 a[136:139], v45, s[84:87], 0 offen     // 0000000089A8: E05C1000 8095882D
	v_mfma_f32_16x16x32_fp8_fp8 v[8:11], a[74:75], a[18:19], v[8:11]// 0000000089B0: D3F30008 1C22254A
	v_mfma_f32_16x16x32_fp8_fp8 v[8:11], a[76:77], a[20:21], v[8:11]// 0000000089B8: D3F30008 1C22294C
	v_mfma_f32_16x16x32_fp8_fp8 v[8:11], a[78:79], a[22:23], v[8:11]// 0000000089C0: D3F30008 1C222D4E
	v_fma_f32 v84, v12, v6, v84                                // 0000000089C8: D1CB0054 05520D0C
	v_fma_f32 v85, v13, v6, v85                                // 0000000089D0: D1CB0055 05560D0D
	v_fma_f32 v86, v14, v6, v86                                // 0000000089D8: D1CB0056 055A0D0E
	v_fma_f32 v87, v15, v6, v87                                // 0000000089E0: D1CB0057 055E0D0F
	v_mul_f32_dpp v6, v24, v35 row_newbcast:2 row_mask:0xf bank_mask:0xf// 0000000089E8: 0A0C46FA FF015218
	v_mfma_f32_16x16x32_fp8_fp8 v[12:15], a[72:73], a[24:25], 0// 0000000089F0: D3F3000C 1A023148
	buffer_load_dwordx4 a[140:143], v45, s[84:87], 0 offen offset:1024// 0000000089F8: E05C1400 80958C2D
	v_mfma_f32_16x16x32_fp8_fp8 v[12:15], a[74:75], a[26:27], v[12:15]// 000000008A00: D3F3000C 1C32354A
	v_mfma_f32_16x16x32_fp8_fp8 v[12:15], a[76:77], a[28:29], v[12:15]// 000000008A08: D3F3000C 1C32394C
	v_mfma_f32_16x16x32_fp8_fp8 v[12:15], a[78:79], a[30:31], v[12:15]// 000000008A10: D3F3000C 1C323D4E
	v_fma_f32 v88, v8, v4, v88                                 // 000000008A18: D1CB0058 05620908
	v_fma_f32 v89, v9, v4, v89                                 // 000000008A20: D1CB0059 05660909
	v_fma_f32 v90, v10, v4, v90                                // 000000008A28: D1CB005A 056A090A
	v_fma_f32 v91, v11, v4, v91                                // 000000008A30: D1CB005B 056E090B
	s_waitcnt vmcnt(15)                                        // 000000008A38: BF8C0F7F
	v_mul_f32_dpp v4, v24, v34 row_newbcast:3 row_mask:0xf bank_mask:0xf// 000000008A3C: 0A0844FA FF015318
	v_mfma_f32_16x16x32_fp8_fp8 v[8:11], a[80:81], a[16:17], 0 // 000000008A44: D3F30008 1A022150
	buffer_load_dwordx4 a[144:147], v46, s[84:87], 0 offen     // 000000008A4C: E05C1000 8095902E
	v_mfma_f32_16x16x32_fp8_fp8 v[8:11], a[82:83], a[18:19], v[8:11]// 000000008A54: D3F30008 1C222552
	v_mfma_f32_16x16x32_fp8_fp8 v[8:11], a[84:85], a[20:21], v[8:11]// 000000008A5C: D3F30008 1C222954
	v_mfma_f32_16x16x32_fp8_fp8 v[8:11], a[86:87], a[22:23], v[8:11]// 000000008A64: D3F30008 1C222D56
	v_fma_f32 v92, v12, v6, v92                                // 000000008A6C: D1CB005C 05720D0C
	v_fma_f32 v93, v13, v6, v93                                // 000000008A74: D1CB005D 05760D0D
	v_fma_f32 v94, v14, v6, v94                                // 000000008A7C: D1CB005E 057A0D0E
	v_fma_f32 v95, v15, v6, v95                                // 000000008A84: D1CB005F 057E0D0F
	v_mul_f32_dpp v6, v24, v35 row_newbcast:3 row_mask:0xf bank_mask:0xf// 000000008A8C: 0A0C46FA FF015318
	v_mfma_f32_16x16x32_fp8_fp8 v[12:15], a[80:81], a[24:25], 0// 000000008A94: D3F3000C 1A023150
	buffer_load_dwordx4 a[148:151], v46, s[84:87], 0 offen offset:1024// 000000008A9C: E05C1400 8095942E
	v_mfma_f32_16x16x32_fp8_fp8 v[12:15], a[82:83], a[26:27], v[12:15]// 000000008AA4: D3F3000C 1C323552
	v_mfma_f32_16x16x32_fp8_fp8 v[12:15], a[84:85], a[28:29], v[12:15]// 000000008AAC: D3F3000C 1C323954
	v_mfma_f32_16x16x32_fp8_fp8 v[12:15], a[86:87], a[30:31], v[12:15]// 000000008AB4: D3F3000C 1C323D56
	v_fma_f32 v96, v8, v4, v96                                 // 000000008ABC: D1CB0060 05820908
	v_fma_f32 v97, v9, v4, v97                                 // 000000008AC4: D1CB0061 05860909
	v_fma_f32 v98, v10, v4, v98                                // 000000008ACC: D1CB0062 058A090A
	v_fma_f32 v99, v11, v4, v99                                // 000000008AD4: D1CB0063 058E090B
	s_waitcnt vmcnt(15)                                        // 000000008ADC: BF8C0F7F
	v_mul_f32_dpp v4, v24, v34 row_newbcast:3 row_mask:0xf bank_mask:0xf// 000000008AE0: 0A0844FA FF015318
	v_mfma_f32_16x16x32_fp8_fp8 v[8:11], a[88:89], a[16:17], 0 // 000000008AE8: D3F30008 1A022158
	buffer_load_dwordx4 a[152:155], v47, s[84:87], 0 offen     // 000000008AF0: E05C1000 8095982F
	v_mfma_f32_16x16x32_fp8_fp8 v[8:11], a[90:91], a[18:19], v[8:11]// 000000008AF8: D3F30008 1C22255A
	v_mfma_f32_16x16x32_fp8_fp8 v[8:11], a[92:93], a[20:21], v[8:11]// 000000008B00: D3F30008 1C22295C
	v_mfma_f32_16x16x32_fp8_fp8 v[8:11], a[94:95], a[22:23], v[8:11]// 000000008B08: D3F30008 1C222D5E
	v_fma_f32 v100, v12, v6, v100                              // 000000008B10: D1CB0064 05920D0C
	v_fma_f32 v101, v13, v6, v101                              // 000000008B18: D1CB0065 05960D0D
	v_fma_f32 v102, v14, v6, v102                              // 000000008B20: D1CB0066 059A0D0E
	v_fma_f32 v103, v15, v6, v103                              // 000000008B28: D1CB0067 059E0D0F
	v_mul_f32_dpp v6, v24, v35 row_newbcast:3 row_mask:0xf bank_mask:0xf// 000000008B30: 0A0C46FA FF015318
	v_mfma_f32_16x16x32_fp8_fp8 v[12:15], a[88:89], a[24:25], 0// 000000008B38: D3F3000C 1A023158
	buffer_load_dwordx4 a[156:159], v47, s[84:87], 0 offen offset:1024// 000000008B40: E05C1400 80959C2F
	buffer_load_dword v36, s[20:23], 0 offen lds               // 000000008B48: E0511000 80050024
	s_add_u32 m0, 0x100, s49                                   // 000000008B50: 807C31FF 00000100
	v_mfma_f32_16x16x32_fp8_fp8 v[12:15], a[90:91], a[26:27], v[12:15]// 000000008B58: D3F3000C 1C32355A
	s_add_u32 s60, 0x80, s80                                   // 000000008B60: 803C50FF 00000080
	s_cmp_lt_u32 s60, s81                                      // 000000008B68: BF0A513C
	s_cselect_b32 s83, s83, 0                                  // 000000008B6C: 85538053
	s_cselect_b32 s4, s4, 0                                    // 000000008B70: 85048004
	v_mfma_f32_16x16x32_fp8_fp8 v[12:15], a[92:93], a[28:29], v[12:15]// 000000008B74: D3F3000C 1C32395C
	buffer_load_dword v37, s[20:23], 0 offen lds               // 000000008B7C: E0511000 80050025
	s_add_u32 m0, 0x200, s49                                   // 000000008B84: 807C31FF 00000200
	s_add_u32 s32, s4, s32                                     // 000000008B8C: 80202004
	s_addc_u32 s33, 0, s33                                     // 000000008B90: 82212180
	v_mfma_f32_16x16x32_fp8_fp8 v[12:15], a[94:95], a[30:31], v[12:15]// 000000008B94: D3F3000C 1C323D5E
	v_fma_f32 v104, v8, v4, v104                               // 000000008B9C: D1CB0068 05A20908
	v_fma_f32 v105, v9, v4, v105                               // 000000008BA4: D1CB0069 05A60909
	v_fma_f32 v106, v10, v4, v106                              // 000000008BAC: D1CB006A 05AA090A
	v_fma_f32 v107, v11, v4, v107                              // 000000008BB4: D1CB006B 05AE090B
	v_fma_f32 v108, v12, v6, v108                              // 000000008BBC: D1CB006C 05B20D0C
	v_fma_f32 v109, v13, v6, v109                              // 000000008BC4: D1CB006D 05B60D0D
	v_fma_f32 v110, v14, v6, v110                              // 000000008BCC: D1CB006E 05BA0D0E
	v_fma_f32 v111, v15, v6, v111                              // 000000008BD4: D1CB006F 05BE0D0F
	buffer_load_dword v38, s[20:23], 0 offen lds               // 000000008BDC: E0511000 80050026
	s_add_u32 m0, 0x300, s49                                   // 000000008BE4: 807C31FF 00000300
	buffer_load_dword v39, s[20:23], 0 offen lds               // 000000008BEC: E0511000 80050027
	s_add_u32 m0, 0, s48                                       // 000000008BF4: 807C3080
	buffer_load_dword v32, v28, s[28:31], 0 offen              // 000000008BF8: E0501000 8007201C
	buffer_load_dword v33, v29, s[28:31], 0 offen              // 000000008C00: E0501000 8007211D
	s_waitcnt vmcnt(6)                                         // 000000008C08: BF8C0F76
	v_mul_f32_dpp v4, v27, v34 row_newbcast:0 row_mask:0xf bank_mask:0xf// 000000008C0C: 0A0844FA FF01501B
	v_mfma_f32_16x16x32_fp8_fp8 v[8:11], a[96:97], a[16:17], 0 // 000000008C14: D3F30008 1A022160
	buffer_load_dword v24, v22, s[32:35], 0 offen              // 000000008C1C: E0501000 80081816
	buffer_load_dwordx4 a[32:35], v40, s[24:27], 0 offen       // 000000008C24: E05C1000 80862028
	v_mfma_f32_16x16x32_fp8_fp8 v[8:11], a[98:99], a[18:19], v[8:11]// 000000008C2C: D3F30008 1C222562
	v_mfma_f32_16x16x32_fp8_fp8 v[8:11], a[100:101], a[20:21], v[8:11]// 000000008C34: D3F30008 1C222964
	ds_read_b128 a[0:3], v2                                    // 000000008C3C: DBFE0000 00000002
	ds_read_b128 a[4:7], v2 offset:64                          // 000000008C44: DBFE0040 04000002
	v_mfma_f32_16x16x32_fp8_fp8 v[8:11], a[102:103], a[22:23], v[8:11]// 000000008C4C: D3F30008 1C222D66
	v_mfma_f32_16x16x32_fp8_fp8 v[12:15], a[104:105], a[16:17], 0// 000000008C54: D3F3000C 1A022168
	buffer_load_dwordx4 a[36:39], v40, s[24:27], 0 offen offset:1024// 000000008C5C: E05C1400 80862428
	v_mfma_f32_16x16x32_fp8_fp8 v[12:15], a[106:107], a[18:19], v[12:15]// 000000008C64: D3F3000C 1C32256A
	v_mfma_f32_16x16x32_fp8_fp8 v[12:15], a[108:109], a[20:21], v[12:15]// 000000008C6C: D3F3000C 1C32296C
	ds_read_b128 a[8:11], v2 offset:512                        // 000000008C74: DBFE0200 08000002
	ds_read_b128 a[12:15], v2 offset:576                       // 000000008C7C: DBFE0240 0C000002
	v_mfma_f32_16x16x32_fp8_fp8 v[12:15], a[110:111], a[22:23], v[12:15]// 000000008C84: D3F3000C 1C322D6E
	v_fma_f32 v112, v8, v4, v112                               // 000000008C8C: D1CB0070 05C20908
	v_fma_f32 v113, v9, v4, v113                               // 000000008C94: D1CB0071 05C60909
	v_fma_f32 v114, v10, v4, v114                              // 000000008C9C: D1CB0072 05CA090A
	v_fma_f32 v115, v11, v4, v115                              // 000000008CA4: D1CB0073 05CE090B
	v_mul_f32_dpp v6, v27, v34 row_newbcast:1 row_mask:0xf bank_mask:0xf// 000000008CAC: 0A0C44FA FF01511B
	v_mfma_f32_16x16x32_fp8_fp8 v[8:11], a[112:113], a[16:17], 0// 000000008CB4: D3F30008 1A022170
	buffer_load_dwordx4 a[40:43], v41, s[24:27], 0 offen       // 000000008CBC: E05C1000 80862829
	v_mfma_f32_16x16x32_fp8_fp8 v[8:11], a[114:115], a[18:19], v[8:11]// 000000008CC4: D3F30008 1C222572
	v_mfma_f32_16x16x32_fp8_fp8 v[8:11], a[116:117], a[20:21], v[8:11]// 000000008CCC: D3F30008 1C222974
	v_mfma_f32_16x16x32_fp8_fp8 v[8:11], a[118:119], a[22:23], v[8:11]// 000000008CD4: D3F30008 1C222D76
	v_fma_f32 v120, v12, v4, v120                              // 000000008CDC: D1CB0078 05E2090C
	v_fma_f32 v121, v13, v4, v121                              // 000000008CE4: D1CB0079 05E6090D
	v_fma_f32 v122, v14, v4, v122                              // 000000008CEC: D1CB007A 05EA090E
	v_fma_f32 v123, v15, v4, v123                              // 000000008CF4: D1CB007B 05EE090F
	v_mfma_f32_16x16x32_fp8_fp8 v[12:15], a[120:121], a[16:17], 0// 000000008CFC: D3F3000C 1A022178
	buffer_load_dwordx4 a[44:47], v41, s[24:27], 0 offen offset:1024// 000000008D04: E05C1400 80862C29
	v_mfma_f32_16x16x32_fp8_fp8 v[12:15], a[122:123], a[18:19], v[12:15]// 000000008D0C: D3F3000C 1C32257A
	v_mfma_f32_16x16x32_fp8_fp8 v[12:15], a[124:125], a[20:21], v[12:15]// 000000008D14: D3F3000C 1C32297C
	v_mfma_f32_16x16x32_fp8_fp8 v[12:15], a[126:127], a[22:23], v[12:15]// 000000008D1C: D3F3000C 1C322D7E
	v_fma_f32 v128, v8, v6, v128                               // 000000008D24: D1CB0080 06020D08
	v_fma_f32 v129, v9, v6, v129                               // 000000008D2C: D1CB0081 06060D09
	v_fma_f32 v130, v10, v6, v130                              // 000000008D34: D1CB0082 060A0D0A
	v_fma_f32 v131, v11, v6, v131                              // 000000008D3C: D1CB0083 060E0D0B
	v_mul_f32_dpp v4, v27, v34 row_newbcast:2 row_mask:0xf bank_mask:0xf// 000000008D44: 0A0844FA FF01521B
	v_mfma_f32_16x16x32_fp8_fp8 v[8:11], a[128:129], a[16:17], 0// 000000008D4C: D3F30008 1A022180
	buffer_load_dwordx4 a[48:51], v42, s[24:27], 0 offen       // 000000008D54: E05C1000 8086302A
	v_mfma_f32_16x16x32_fp8_fp8 v[8:11], a[130:131], a[18:19], v[8:11]// 000000008D5C: D3F30008 1C222582
	v_mfma_f32_16x16x32_fp8_fp8 v[8:11], a[132:133], a[20:21], v[8:11]// 000000008D64: D3F30008 1C222984
	v_mfma_f32_16x16x32_fp8_fp8 v[8:11], a[134:135], a[22:23], v[8:11]// 000000008D6C: D3F30008 1C222D86
	v_fma_f32 v136, v12, v6, v136                              // 000000008D74: D1CB0088 06220D0C
	v_fma_f32 v137, v13, v6, v137                              // 000000008D7C: D1CB0089 06260D0D
	v_fma_f32 v138, v14, v6, v138                              // 000000008D84: D1CB008A 062A0D0E
	v_fma_f32 v139, v15, v6, v139                              // 000000008D8C: D1CB008B 062E0D0F
	v_mfma_f32_16x16x32_fp8_fp8 v[12:15], a[136:137], a[16:17], 0// 000000008D94: D3F3000C 1A022188
	buffer_load_dwordx4 a[52:55], v42, s[24:27], 0 offen offset:1024// 000000008D9C: E05C1400 8086342A
	v_mfma_f32_16x16x32_fp8_fp8 v[12:15], a[138:139], a[18:19], v[12:15]// 000000008DA4: D3F3000C 1C32258A
	v_mfma_f32_16x16x32_fp8_fp8 v[12:15], a[140:141], a[20:21], v[12:15]// 000000008DAC: D3F3000C 1C32298C
	v_mfma_f32_16x16x32_fp8_fp8 v[12:15], a[142:143], a[22:23], v[12:15]// 000000008DB4: D3F3000C 1C322D8E
	v_fma_f32 v144, v8, v4, v144                               // 000000008DBC: D1CB0090 06420908
	v_fma_f32 v145, v9, v4, v145                               // 000000008DC4: D1CB0091 06460909
	v_fma_f32 v146, v10, v4, v146                              // 000000008DCC: D1CB0092 064A090A
	v_fma_f32 v147, v11, v4, v147                              // 000000008DD4: D1CB0093 064E090B
	v_mul_f32_dpp v6, v27, v34 row_newbcast:3 row_mask:0xf bank_mask:0xf// 000000008DDC: 0A0C44FA FF01531B
	v_mfma_f32_16x16x32_fp8_fp8 v[8:11], a[144:145], a[16:17], 0// 000000008DE4: D3F30008 1A022190
	buffer_load_dwordx4 a[56:59], v43, s[24:27], 0 offen       // 000000008DEC: E05C1000 8086382B
	v_mfma_f32_16x16x32_fp8_fp8 v[8:11], a[146:147], a[18:19], v[8:11]// 000000008DF4: D3F30008 1C222592
	v_mfma_f32_16x16x32_fp8_fp8 v[8:11], a[148:149], a[20:21], v[8:11]// 000000008DFC: D3F30008 1C222994
	v_mfma_f32_16x16x32_fp8_fp8 v[8:11], a[150:151], a[22:23], v[8:11]// 000000008E04: D3F30008 1C222D96
	v_fma_f32 v152, v12, v4, v152                              // 000000008E0C: D1CB0098 0662090C
	v_fma_f32 v153, v13, v4, v153                              // 000000008E14: D1CB0099 0666090D
	v_fma_f32 v154, v14, v4, v154                              // 000000008E1C: D1CB009A 066A090E
	v_fma_f32 v155, v15, v4, v155                              // 000000008E24: D1CB009B 066E090F
	v_mfma_f32_16x16x32_fp8_fp8 v[12:15], a[152:153], a[16:17], 0// 000000008E2C: D3F3000C 1A022198
	buffer_load_dwordx4 a[60:63], v43, s[24:27], 0 offen offset:1024// 000000008E34: E05C1400 80863C2B
	v_mfma_f32_16x16x32_fp8_fp8 v[12:15], a[154:155], a[18:19], v[12:15]// 000000008E3C: D3F3000C 1C32259A
	v_mfma_f32_16x16x32_fp8_fp8 v[12:15], a[156:157], a[20:21], v[12:15]// 000000008E44: D3F3000C 1C32299C
	v_mfma_f32_16x16x32_fp8_fp8 v[12:15], a[158:159], a[22:23], v[12:15]// 000000008E4C: D3F3000C 1C322D9E
	v_fma_f32 v160, v8, v6, v160                               // 000000008E54: D1CB00A0 06820D08
	v_fma_f32 v161, v9, v6, v161                               // 000000008E5C: D1CB00A1 06860D09
	v_fma_f32 v162, v10, v6, v162                              // 000000008E64: D1CB00A2 068A0D0A
	v_fma_f32 v163, v11, v6, v163                              // 000000008E6C: D1CB00A3 068E0D0B
	v_mul_f32_dpp v4, v27, v35 row_newbcast:0 row_mask:0xf bank_mask:0xf// 000000008E74: 0A0846FA FF01501B
	v_mfma_f32_16x16x32_fp8_fp8 v[8:11], a[96:97], a[24:25], 0 // 000000008E7C: D3F30008 1A023160
	buffer_load_dwordx4 a[64:67], v44, s[24:27], 0 offen       // 000000008E84: E05C1000 8086402C
	v_mfma_f32_16x16x32_fp8_fp8 v[8:11], a[98:99], a[26:27], v[8:11]// 000000008E8C: D3F30008 1C223562
	v_mfma_f32_16x16x32_fp8_fp8 v[8:11], a[100:101], a[28:29], v[8:11]// 000000008E94: D3F30008 1C223964
	v_mfma_f32_16x16x32_fp8_fp8 v[8:11], a[102:103], a[30:31], v[8:11]// 000000008E9C: D3F30008 1C223D66
	v_fma_f32 v168, v12, v6, v168                              // 000000008EA4: D1CB00A8 06A20D0C
	v_fma_f32 v169, v13, v6, v169                              // 000000008EAC: D1CB00A9 06A60D0D
	v_fma_f32 v170, v14, v6, v170                              // 000000008EB4: D1CB00AA 06AA0D0E
	v_fma_f32 v171, v15, v6, v171                              // 000000008EBC: D1CB00AB 06AE0D0F
	v_mfma_f32_16x16x32_fp8_fp8 v[12:15], a[104:105], a[24:25], 0// 000000008EC4: D3F3000C 1A023168
	buffer_load_dwordx4 a[68:71], v44, s[24:27], 0 offen offset:1024// 000000008ECC: E05C1400 8086442C
	v_mfma_f32_16x16x32_fp8_fp8 v[12:15], a[106:107], a[26:27], v[12:15]// 000000008ED4: D3F3000C 1C32356A
	v_mfma_f32_16x16x32_fp8_fp8 v[12:15], a[108:109], a[28:29], v[12:15]// 000000008EDC: D3F3000C 1C32396C
	v_mfma_f32_16x16x32_fp8_fp8 v[12:15], a[110:111], a[30:31], v[12:15]// 000000008EE4: D3F3000C 1C323D6E
	v_fma_f32 v116, v8, v4, v116                               // 000000008EEC: D1CB0074 05D20908
	v_fma_f32 v117, v9, v4, v117                               // 000000008EF4: D1CB0075 05D60909
	v_fma_f32 v118, v10, v4, v118                              // 000000008EFC: D1CB0076 05DA090A
	v_fma_f32 v119, v11, v4, v119                              // 000000008F04: D1CB0077 05DE090B
	v_mul_f32_dpp v6, v27, v35 row_newbcast:1 row_mask:0xf bank_mask:0xf// 000000008F0C: 0A0C46FA FF01511B
	v_mfma_f32_16x16x32_fp8_fp8 v[8:11], a[112:113], a[24:25], 0// 000000008F14: D3F30008 1A023170
	buffer_load_dwordx4 a[72:75], v45, s[24:27], 0 offen       // 000000008F1C: E05C1000 8086482D
	v_mfma_f32_16x16x32_fp8_fp8 v[8:11], a[114:115], a[26:27], v[8:11]// 000000008F24: D3F30008 1C223572
	v_mfma_f32_16x16x32_fp8_fp8 v[8:11], a[116:117], a[28:29], v[8:11]// 000000008F2C: D3F30008 1C223974
	v_mfma_f32_16x16x32_fp8_fp8 v[8:11], a[118:119], a[30:31], v[8:11]// 000000008F34: D3F30008 1C223D76
	v_fma_f32 v124, v12, v4, v124                              // 000000008F3C: D1CB007C 05F2090C
	v_fma_f32 v125, v13, v4, v125                              // 000000008F44: D1CB007D 05F6090D
	v_fma_f32 v126, v14, v4, v126                              // 000000008F4C: D1CB007E 05FA090E
	v_fma_f32 v127, v15, v4, v127                              // 000000008F54: D1CB007F 05FE090F
	v_mfma_f32_16x16x32_fp8_fp8 v[12:15], a[120:121], a[24:25], 0// 000000008F5C: D3F3000C 1A023178
	buffer_load_dwordx4 a[76:79], v45, s[24:27], 0 offen offset:1024// 000000008F64: E05C1400 80864C2D
	v_mfma_f32_16x16x32_fp8_fp8 v[12:15], a[122:123], a[26:27], v[12:15]// 000000008F6C: D3F3000C 1C32357A
	v_mfma_f32_16x16x32_fp8_fp8 v[12:15], a[124:125], a[28:29], v[12:15]// 000000008F74: D3F3000C 1C32397C
	v_mfma_f32_16x16x32_fp8_fp8 v[12:15], a[126:127], a[30:31], v[12:15]// 000000008F7C: D3F3000C 1C323D7E
	v_fma_f32 v132, v8, v6, v132                               // 000000008F84: D1CB0084 06120D08
	v_fma_f32 v133, v9, v6, v133                               // 000000008F8C: D1CB0085 06160D09
	v_fma_f32 v134, v10, v6, v134                              // 000000008F94: D1CB0086 061A0D0A
	v_fma_f32 v135, v11, v6, v135                              // 000000008F9C: D1CB0087 061E0D0B
	v_mul_f32_dpp v4, v27, v35 row_newbcast:2 row_mask:0xf bank_mask:0xf// 000000008FA4: 0A0846FA FF01521B
	v_mfma_f32_16x16x32_fp8_fp8 v[8:11], a[128:129], a[24:25], 0// 000000008FAC: D3F30008 1A023180
	buffer_load_dwordx4 a[80:83], v46, s[24:27], 0 offen       // 000000008FB4: E05C1000 8086502E
	v_mfma_f32_16x16x32_fp8_fp8 v[8:11], a[130:131], a[26:27], v[8:11]// 000000008FBC: D3F30008 1C223582
	v_mfma_f32_16x16x32_fp8_fp8 v[8:11], a[132:133], a[28:29], v[8:11]// 000000008FC4: D3F30008 1C223984
	v_mfma_f32_16x16x32_fp8_fp8 v[8:11], a[134:135], a[30:31], v[8:11]// 000000008FCC: D3F30008 1C223D86
	v_fma_f32 v140, v12, v6, v140                              // 000000008FD4: D1CB008C 06320D0C
	v_fma_f32 v141, v13, v6, v141                              // 000000008FDC: D1CB008D 06360D0D
	v_fma_f32 v142, v14, v6, v142                              // 000000008FE4: D1CB008E 063A0D0E
	v_fma_f32 v143, v15, v6, v143                              // 000000008FEC: D1CB008F 063E0D0F
	v_mfma_f32_16x16x32_fp8_fp8 v[12:15], a[136:137], a[24:25], 0// 000000008FF4: D3F3000C 1A023188
	buffer_load_dwordx4 a[84:87], v46, s[24:27], 0 offen offset:1024// 000000008FFC: E05C1400 8086542E
	v_mfma_f32_16x16x32_fp8_fp8 v[12:15], a[138:139], a[26:27], v[12:15]// 000000009004: D3F3000C 1C32358A
	v_mfma_f32_16x16x32_fp8_fp8 v[12:15], a[140:141], a[28:29], v[12:15]// 00000000900C: D3F3000C 1C32398C
	v_mfma_f32_16x16x32_fp8_fp8 v[12:15], a[142:143], a[30:31], v[12:15]// 000000009014: D3F3000C 1C323D8E
	v_fma_f32 v148, v8, v4, v148                               // 00000000901C: D1CB0094 06520908
	v_fma_f32 v149, v9, v4, v149                               // 000000009024: D1CB0095 06560909
	v_fma_f32 v150, v10, v4, v150                              // 00000000902C: D1CB0096 065A090A
	v_fma_f32 v151, v11, v4, v151                              // 000000009034: D1CB0097 065E090B
	v_mul_f32_dpp v6, v27, v35 row_newbcast:3 row_mask:0xf bank_mask:0xf// 00000000903C: 0A0C46FA FF01531B
	v_mfma_f32_16x16x32_fp8_fp8 v[8:11], a[144:145], a[24:25], 0// 000000009044: D3F30008 1A023190
	buffer_load_dwordx4 a[88:91], v47, s[24:27], 0 offen       // 00000000904C: E05C1000 8086582F
	v_mfma_f32_16x16x32_fp8_fp8 v[8:11], a[146:147], a[26:27], v[8:11]// 000000009054: D3F30008 1C223592
	v_mfma_f32_16x16x32_fp8_fp8 v[8:11], a[148:149], a[28:29], v[8:11]// 00000000905C: D3F30008 1C223994
	s_add_u32 s60, 0x180, s80                                  // 000000009064: 803C50FF 00000180
	s_cmp_lt_u32 s60, s81                                      // 00000000906C: BF0A513C
	s_cselect_b32 s57, s57, 0                                  // 000000009070: 85398039
	s_cselect_b32 s3, s3, 0                                    // 000000009074: 85038003
	v_mfma_f32_16x16x32_fp8_fp8 v[8:11], a[150:151], a[30:31], v[8:11]// 000000009078: D3F30008 1C223D96
	s_add_u32 s60, 0x100, s80                                  // 000000009080: 803C50FF 00000100
	s_cmp_lt_u32 s60, s81                                      // 000000009088: BF0A513C
	s_cselect_b32 s58, s58, 0                                  // 00000000908C: 853A803A
	v_fma_f32 v156, v12, v4, v156                              // 000000009090: D1CB009C 0672090C
	v_fma_f32 v157, v13, v4, v157                              // 000000009098: D1CB009D 0676090D
	v_fma_f32 v158, v14, v4, v158                              // 0000000090A0: D1CB009E 067A090E
	v_fma_f32 v159, v15, v4, v159                              // 0000000090A8: D1CB009F 067E090F
	v_mfma_f32_16x16x32_fp8_fp8 v[12:15], a[152:153], a[24:25], 0// 0000000090B0: D3F3000C 1A023198
	buffer_load_dwordx4 a[92:95], v47, s[24:27], 0 offen offset:1024// 0000000090B8: E05C1400 80865C2F
	s_add_u32 s24, s58, s24                                    // 0000000090C0: 8018183A
	s_addc_u32 s25, 0, s25                                     // 0000000090C4: 82191980
	v_mfma_f32_16x16x32_fp8_fp8 v[12:15], a[154:155], a[26:27], v[12:15]// 0000000090C8: D3F3000C 1C32359A
	s_add_u32 s20, s57, s20                                    // 0000000090D0: 80141439
	s_addc_u32 s21, 0, s21                                     // 0000000090D4: 82151580
	s_add_u32 s28, s3, s28                                     // 0000000090D8: 801C1C03
	s_addc_u32 s29, 0, s29                                     // 0000000090DC: 821D1D80
	v_mfma_f32_16x16x32_fp8_fp8 v[12:15], a[156:157], a[28:29], v[12:15]// 0000000090E0: D3F3000C 1C32399C
	s_add_u32 s84, s83, s84                                    // 0000000090E8: 80545453
	s_addc_u32 s85, 0, s85                                     // 0000000090EC: 82555580
	v_mfma_f32_16x16x32_fp8_fp8 v[12:15], a[158:159], a[30:31], v[12:15]// 0000000090F0: D3F3000C 1C323D9E
	v_fma_f32 v164, v8, v6, v164                               // 0000000090F8: D1CB00A4 06920D08
	v_fma_f32 v165, v9, v6, v165                               // 000000009100: D1CB00A5 06960D09
	v_fma_f32 v166, v10, v6, v166                              // 000000009108: D1CB00A6 069A0D0A
	v_fma_f32 v167, v11, v6, v167                              // 000000009110: D1CB00A7 069E0D0B
	v_fma_f32 v172, v12, v6, v172                              // 000000009118: D1CB00AC 06B20D0C
	v_fma_f32 v173, v13, v6, v173                              // 000000009120: D1CB00AD 06B60D0D
	v_fma_f32 v174, v14, v6, v174                              // 000000009128: D1CB00AE 06BA0D0E
	v_fma_f32 v175, v15, v6, v175                              // 000000009130: D1CB00AF 06BE0D0F
	s_addk_i32 s80, 0x80                                       // 000000009138: B7500080
	s_cmp_lt_i32 s80, s81                                      // 00000000913C: BF045150
	s_cbranch_scc0 label_19D5                                  // 000000009140: BF840001
	s_branch label_1468                                        // 000000009144: BF82FA93

0000000000009148 <label_19D5>:
	s_cmp_eq_u32 s88, 0                                        // 000000009148: BF068058
	s_cbranch_scc0 label_227A                                  // 00000000914C: BF8408A3
	s_cmp_eq_u32 s89, 0                                        // 000000009150: BF068059
	s_cbranch_scc1 label_1C5E                                  // 000000009154: BF850285
	v_mov_b32_e32 v8, v1                                       // 000000009158: 7E100301
	v_mov_b32_e32 v9, v1                                       // 00000000915C: 7E120301
	s_mov_b32 s60, s6                                          // 000000009160: BEBC0006
	s_mov_b32 s61, s6                                          // 000000009164: BEBD0006
	v_pk_mul_f32 v[4:5], v[48:49], v[48:49]                    // 000000009168: D3B14004 18026130
	v_pk_mul_f32 v[6:7], v[50:51], v[50:51]                    // 000000009170: D3B14006 18026532
	v_pk_fma_f32 v[4:5], v[4:5], s[78:79], v[8:9]              // 000000009178: D3B04004 1C209D04
	v_pk_fma_f32 v[6:7], v[6:7], s[78:79], v[8:9]              // 000000009180: D3B04006 1C209D06
	v_pk_mul_f32 v[4:5], v[4:5], v[48:49]                      // 000000009188: D3B14004 18026104
	v_pk_mul_f32 v[6:7], v[6:7], v[50:51]                      // 000000009190: D3B14006 18026506
	v_pk_mul_f32 v[4:5], v[4:5], s[60:61]                      // 000000009198: D3B14004 18007904
	v_pk_mul_f32 v[6:7], v[6:7], s[60:61]                      // 0000000091A0: D3B14006 18007906
	v_exp_f32_e32 v4, v4                                       // 0000000091A8: 7E084104
	v_exp_f32_e32 v5, v5                                       // 0000000091AC: 7E0A4105
	v_exp_f32_e32 v6, v6                                       // 0000000091B0: 7E0C4106
	v_exp_f32_e32 v7, v7                                       // 0000000091B4: 7E0E4107
	v_add_f32_e64 v4, v4, 1.0                                  // 0000000091B8: D1010004 0001E504
	v_add_f32_e64 v5, v5, 1.0                                  // 0000000091C0: D1010005 0001E505
	v_add_f32_e64 v6, v6, 1.0                                  // 0000000091C8: D1010006 0001E506
	v_add_f32_e64 v7, v7, 1.0                                  // 0000000091D0: D1010007 0001E507
	v_rcp_f32_e32 v4, v4                                       // 0000000091D8: 7E084504
	v_rcp_f32_e32 v5, v5                                       // 0000000091DC: 7E0A4505
	v_rcp_f32_e32 v6, v6                                       // 0000000091E0: 7E0C4506
	v_rcp_f32_e32 v7, v7                                       // 0000000091E4: 7E0E4507
	v_mul_f32_e32 v48, v48, v4                                 // 0000000091E8: 0A600930
	v_mul_f32_e32 v49, v49, v5                                 // 0000000091EC: 0A620B31
	v_mul_f32_e32 v50, v50, v6                                 // 0000000091F0: 0A640D32
	v_mul_f32_e32 v51, v51, v7                                 // 0000000091F4: 0A660F33
	v_mul_f32_e32 v48, v48, v112                               // 0000000091F8: 0A60E130
	v_mul_f32_e32 v49, v49, v113                               // 0000000091FC: 0A62E331
	v_mul_f32_e32 v50, v50, v114                               // 000000009200: 0A64E532
	v_mul_f32_e32 v51, v51, v115                               // 000000009204: 0A66E733
	v_pk_mul_f32 v[4:5], v[52:53], v[52:53]                    // 000000009208: D3B14004 18026934
	v_pk_mul_f32 v[6:7], v[54:55], v[54:55]                    // 000000009210: D3B14006 18026D36
	v_pk_fma_f32 v[4:5], v[4:5], s[78:79], v[8:9]              // 000000009218: D3B04004 1C209D04
	v_pk_fma_f32 v[6:7], v[6:7], s[78:79], v[8:9]              // 000000009220: D3B04006 1C209D06
	v_pk_mul_f32 v[4:5], v[4:5], v[52:53]                      // 000000009228: D3B14004 18026904
	v_pk_mul_f32 v[6:7], v[6:7], v[54:55]                      // 000000009230: D3B14006 18026D06
	v_pk_mul_f32 v[4:5], v[4:5], s[60:61]                      // 000000009238: D3B14004 18007904
	v_pk_mul_f32 v[6:7], v[6:7], s[60:61]                      // 000000009240: D3B14006 18007906
	v_exp_f32_e32 v4, v4                                       // 000000009248: 7E084104
	v_exp_f32_e32 v5, v5                                       // 00000000924C: 7E0A4105
	v_exp_f32_e32 v6, v6                                       // 000000009250: 7E0C4106
	v_exp_f32_e32 v7, v7                                       // 000000009254: 7E0E4107
	v_add_f32_e64 v4, v4, 1.0                                  // 000000009258: D1010004 0001E504
	v_add_f32_e64 v5, v5, 1.0                                  // 000000009260: D1010005 0001E505
	v_add_f32_e64 v6, v6, 1.0                                  // 000000009268: D1010006 0001E506
	v_add_f32_e64 v7, v7, 1.0                                  // 000000009270: D1010007 0001E507
	v_rcp_f32_e32 v4, v4                                       // 000000009278: 7E084504
	v_rcp_f32_e32 v5, v5                                       // 00000000927C: 7E0A4505
	v_rcp_f32_e32 v6, v6                                       // 000000009280: 7E0C4506
	v_rcp_f32_e32 v7, v7                                       // 000000009284: 7E0E4507
	v_mul_f32_e32 v52, v52, v4                                 // 000000009288: 0A680934
	v_mul_f32_e32 v53, v53, v5                                 // 00000000928C: 0A6A0B35
	v_mul_f32_e32 v54, v54, v6                                 // 000000009290: 0A6C0D36
	v_mul_f32_e32 v55, v55, v7                                 // 000000009294: 0A6E0F37
	v_mul_f32_e32 v52, v52, v116                               // 000000009298: 0A68E934
	v_mul_f32_e32 v53, v53, v117                               // 00000000929C: 0A6AEB35
	v_mul_f32_e32 v54, v54, v118                               // 0000000092A0: 0A6CED36
	v_mul_f32_e32 v55, v55, v119                               // 0000000092A4: 0A6EEF37
	v_pk_mul_f32 v[4:5], v[56:57], v[56:57]                    // 0000000092A8: D3B14004 18027138
	v_pk_mul_f32 v[6:7], v[58:59], v[58:59]                    // 0000000092B0: D3B14006 1802753A
	v_pk_fma_f32 v[4:5], v[4:5], s[78:79], v[8:9]              // 0000000092B8: D3B04004 1C209D04
	v_pk_fma_f32 v[6:7], v[6:7], s[78:79], v[8:9]              // 0000000092C0: D3B04006 1C209D06
	v_pk_mul_f32 v[4:5], v[4:5], v[56:57]                      // 0000000092C8: D3B14004 18027104
	v_pk_mul_f32 v[6:7], v[6:7], v[58:59]                      // 0000000092D0: D3B14006 18027506
	v_pk_mul_f32 v[4:5], v[4:5], s[60:61]                      // 0000000092D8: D3B14004 18007904
	v_pk_mul_f32 v[6:7], v[6:7], s[60:61]                      // 0000000092E0: D3B14006 18007906
	v_exp_f32_e32 v4, v4                                       // 0000000092E8: 7E084104
	v_exp_f32_e32 v5, v5                                       // 0000000092EC: 7E0A4105
	v_exp_f32_e32 v6, v6                                       // 0000000092F0: 7E0C4106
	v_exp_f32_e32 v7, v7                                       // 0000000092F4: 7E0E4107
	v_add_f32_e64 v4, v4, 1.0                                  // 0000000092F8: D1010004 0001E504
	v_add_f32_e64 v5, v5, 1.0                                  // 000000009300: D1010005 0001E505
	v_add_f32_e64 v6, v6, 1.0                                  // 000000009308: D1010006 0001E506
	v_add_f32_e64 v7, v7, 1.0                                  // 000000009310: D1010007 0001E507
	v_rcp_f32_e32 v4, v4                                       // 000000009318: 7E084504
	v_rcp_f32_e32 v5, v5                                       // 00000000931C: 7E0A4505
	v_rcp_f32_e32 v6, v6                                       // 000000009320: 7E0C4506
	v_rcp_f32_e32 v7, v7                                       // 000000009324: 7E0E4507
	v_mul_f32_e32 v56, v56, v4                                 // 000000009328: 0A700938
	v_mul_f32_e32 v57, v57, v5                                 // 00000000932C: 0A720B39
	v_mul_f32_e32 v58, v58, v6                                 // 000000009330: 0A740D3A
	v_mul_f32_e32 v59, v59, v7                                 // 000000009334: 0A760F3B
	v_mul_f32_e32 v56, v56, v120                               // 000000009338: 0A70F138
	v_mul_f32_e32 v57, v57, v121                               // 00000000933C: 0A72F339
	v_mul_f32_e32 v58, v58, v122                               // 000000009340: 0A74F53A
	v_mul_f32_e32 v59, v59, v123                               // 000000009344: 0A76F73B
	v_pk_mul_f32 v[4:5], v[60:61], v[60:61]                    // 000000009348: D3B14004 1802793C
	v_pk_mul_f32 v[6:7], v[62:63], v[62:63]                    // 000000009350: D3B14006 18027D3E
	v_pk_fma_f32 v[4:5], v[4:5], s[78:79], v[8:9]              // 000000009358: D3B04004 1C209D04
	v_pk_fma_f32 v[6:7], v[6:7], s[78:79], v[8:9]              // 000000009360: D3B04006 1C209D06
	v_pk_mul_f32 v[4:5], v[4:5], v[60:61]                      // 000000009368: D3B14004 18027904
	v_pk_mul_f32 v[6:7], v[6:7], v[62:63]                      // 000000009370: D3B14006 18027D06
	v_pk_mul_f32 v[4:5], v[4:5], s[60:61]                      // 000000009378: D3B14004 18007904
	v_pk_mul_f32 v[6:7], v[6:7], s[60:61]                      // 000000009380: D3B14006 18007906
	v_exp_f32_e32 v4, v4                                       // 000000009388: 7E084104
	v_exp_f32_e32 v5, v5                                       // 00000000938C: 7E0A4105
	v_exp_f32_e32 v6, v6                                       // 000000009390: 7E0C4106
	v_exp_f32_e32 v7, v7                                       // 000000009394: 7E0E4107
	v_add_f32_e64 v4, v4, 1.0                                  // 000000009398: D1010004 0001E504
	v_add_f32_e64 v5, v5, 1.0                                  // 0000000093A0: D1010005 0001E505
	v_add_f32_e64 v6, v6, 1.0                                  // 0000000093A8: D1010006 0001E506
	v_add_f32_e64 v7, v7, 1.0                                  // 0000000093B0: D1010007 0001E507
	v_rcp_f32_e32 v4, v4                                       // 0000000093B8: 7E084504
	v_rcp_f32_e32 v5, v5                                       // 0000000093BC: 7E0A4505
	v_rcp_f32_e32 v6, v6                                       // 0000000093C0: 7E0C4506
	v_rcp_f32_e32 v7, v7                                       // 0000000093C4: 7E0E4507
	v_mul_f32_e32 v60, v60, v4                                 // 0000000093C8: 0A78093C
	v_mul_f32_e32 v61, v61, v5                                 // 0000000093CC: 0A7A0B3D
	v_mul_f32_e32 v62, v62, v6                                 // 0000000093D0: 0A7C0D3E
	v_mul_f32_e32 v63, v63, v7                                 // 0000000093D4: 0A7E0F3F
	v_mul_f32_e32 v60, v60, v124                               // 0000000093D8: 0A78F93C
	v_mul_f32_e32 v61, v61, v125                               // 0000000093DC: 0A7AFB3D
	v_mul_f32_e32 v62, v62, v126                               // 0000000093E0: 0A7CFD3E
	v_mul_f32_e32 v63, v63, v127                               // 0000000093E4: 0A7EFF3F
	v_pk_mul_f32 v[4:5], v[64:65], v[64:65]                    // 0000000093E8: D3B14004 18028140
	v_pk_mul_f32 v[6:7], v[66:67], v[66:67]                    // 0000000093F0: D3B14006 18028542
	v_pk_fma_f32 v[4:5], v[4:5], s[78:79], v[8:9]              // 0000000093F8: D3B04004 1C209D04
	v_pk_fma_f32 v[6:7], v[6:7], s[78:79], v[8:9]              // 000000009400: D3B04006 1C209D06
	v_pk_mul_f32 v[4:5], v[4:5], v[64:65]                      // 000000009408: D3B14004 18028104
	v_pk_mul_f32 v[6:7], v[6:7], v[66:67]                      // 000000009410: D3B14006 18028506
	v_pk_mul_f32 v[4:5], v[4:5], s[60:61]                      // 000000009418: D3B14004 18007904
	v_pk_mul_f32 v[6:7], v[6:7], s[60:61]                      // 000000009420: D3B14006 18007906
	v_exp_f32_e32 v4, v4                                       // 000000009428: 7E084104
	v_exp_f32_e32 v5, v5                                       // 00000000942C: 7E0A4105
	v_exp_f32_e32 v6, v6                                       // 000000009430: 7E0C4106
	v_exp_f32_e32 v7, v7                                       // 000000009434: 7E0E4107
	v_add_f32_e64 v4, v4, 1.0                                  // 000000009438: D1010004 0001E504
	v_add_f32_e64 v5, v5, 1.0                                  // 000000009440: D1010005 0001E505
	v_add_f32_e64 v6, v6, 1.0                                  // 000000009448: D1010006 0001E506
	v_add_f32_e64 v7, v7, 1.0                                  // 000000009450: D1010007 0001E507
	v_rcp_f32_e32 v4, v4                                       // 000000009458: 7E084504
	v_rcp_f32_e32 v5, v5                                       // 00000000945C: 7E0A4505
	v_rcp_f32_e32 v6, v6                                       // 000000009460: 7E0C4506
	v_rcp_f32_e32 v7, v7                                       // 000000009464: 7E0E4507
	v_mul_f32_e32 v64, v64, v4                                 // 000000009468: 0A800940
	v_mul_f32_e32 v65, v65, v5                                 // 00000000946C: 0A820B41
	v_mul_f32_e32 v66, v66, v6                                 // 000000009470: 0A840D42
	v_mul_f32_e32 v67, v67, v7                                 // 000000009474: 0A860F43
	v_mul_f32_e32 v64, v64, v128                               // 000000009478: 0A810140
	v_mul_f32_e32 v65, v65, v129                               // 00000000947C: 0A830341
	v_mul_f32_e32 v66, v66, v130                               // 000000009480: 0A850542
	v_mul_f32_e32 v67, v67, v131                               // 000000009484: 0A870743
	v_pk_mul_f32 v[4:5], v[68:69], v[68:69]                    // 000000009488: D3B14004 18028944
	v_pk_mul_f32 v[6:7], v[70:71], v[70:71]                    // 000000009490: D3B14006 18028D46
	v_pk_fma_f32 v[4:5], v[4:5], s[78:79], v[8:9]              // 000000009498: D3B04004 1C209D04
	v_pk_fma_f32 v[6:7], v[6:7], s[78:79], v[8:9]              // 0000000094A0: D3B04006 1C209D06
	v_pk_mul_f32 v[4:5], v[4:5], v[68:69]                      // 0000000094A8: D3B14004 18028904
	v_pk_mul_f32 v[6:7], v[6:7], v[70:71]                      // 0000000094B0: D3B14006 18028D06
	v_pk_mul_f32 v[4:5], v[4:5], s[60:61]                      // 0000000094B8: D3B14004 18007904
	v_pk_mul_f32 v[6:7], v[6:7], s[60:61]                      // 0000000094C0: D3B14006 18007906
	v_exp_f32_e32 v4, v4                                       // 0000000094C8: 7E084104
	v_exp_f32_e32 v5, v5                                       // 0000000094CC: 7E0A4105
	v_exp_f32_e32 v6, v6                                       // 0000000094D0: 7E0C4106
	v_exp_f32_e32 v7, v7                                       // 0000000094D4: 7E0E4107
	v_add_f32_e64 v4, v4, 1.0                                  // 0000000094D8: D1010004 0001E504
	v_add_f32_e64 v5, v5, 1.0                                  // 0000000094E0: D1010005 0001E505
	v_add_f32_e64 v6, v6, 1.0                                  // 0000000094E8: D1010006 0001E506
	v_add_f32_e64 v7, v7, 1.0                                  // 0000000094F0: D1010007 0001E507
	v_rcp_f32_e32 v4, v4                                       // 0000000094F8: 7E084504
	v_rcp_f32_e32 v5, v5                                       // 0000000094FC: 7E0A4505
	v_rcp_f32_e32 v6, v6                                       // 000000009500: 7E0C4506
	v_rcp_f32_e32 v7, v7                                       // 000000009504: 7E0E4507
	v_mul_f32_e32 v68, v68, v4                                 // 000000009508: 0A880944
	v_mul_f32_e32 v69, v69, v5                                 // 00000000950C: 0A8A0B45
	v_mul_f32_e32 v70, v70, v6                                 // 000000009510: 0A8C0D46
	v_mul_f32_e32 v71, v71, v7                                 // 000000009514: 0A8E0F47
	v_mul_f32_e32 v68, v68, v132                               // 000000009518: 0A890944
	v_mul_f32_e32 v69, v69, v133                               // 00000000951C: 0A8B0B45
	v_mul_f32_e32 v70, v70, v134                               // 000000009520: 0A8D0D46
	v_mul_f32_e32 v71, v71, v135                               // 000000009524: 0A8F0F47
	v_pk_mul_f32 v[4:5], v[72:73], v[72:73]                    // 000000009528: D3B14004 18029148
	v_pk_mul_f32 v[6:7], v[74:75], v[74:75]                    // 000000009530: D3B14006 1802954A
	v_pk_fma_f32 v[4:5], v[4:5], s[78:79], v[8:9]              // 000000009538: D3B04004 1C209D04
	v_pk_fma_f32 v[6:7], v[6:7], s[78:79], v[8:9]              // 000000009540: D3B04006 1C209D06
	v_pk_mul_f32 v[4:5], v[4:5], v[72:73]                      // 000000009548: D3B14004 18029104
	v_pk_mul_f32 v[6:7], v[6:7], v[74:75]                      // 000000009550: D3B14006 18029506
	v_pk_mul_f32 v[4:5], v[4:5], s[60:61]                      // 000000009558: D3B14004 18007904
	v_pk_mul_f32 v[6:7], v[6:7], s[60:61]                      // 000000009560: D3B14006 18007906
	v_exp_f32_e32 v4, v4                                       // 000000009568: 7E084104
	v_exp_f32_e32 v5, v5                                       // 00000000956C: 7E0A4105
	v_exp_f32_e32 v6, v6                                       // 000000009570: 7E0C4106
	v_exp_f32_e32 v7, v7                                       // 000000009574: 7E0E4107
	v_add_f32_e64 v4, v4, 1.0                                  // 000000009578: D1010004 0001E504
	v_add_f32_e64 v5, v5, 1.0                                  // 000000009580: D1010005 0001E505
	v_add_f32_e64 v6, v6, 1.0                                  // 000000009588: D1010006 0001E506
	v_add_f32_e64 v7, v7, 1.0                                  // 000000009590: D1010007 0001E507
	v_rcp_f32_e32 v4, v4                                       // 000000009598: 7E084504
	v_rcp_f32_e32 v5, v5                                       // 00000000959C: 7E0A4505
	v_rcp_f32_e32 v6, v6                                       // 0000000095A0: 7E0C4506
	v_rcp_f32_e32 v7, v7                                       // 0000000095A4: 7E0E4507
	v_mul_f32_e32 v72, v72, v4                                 // 0000000095A8: 0A900948
	v_mul_f32_e32 v73, v73, v5                                 // 0000000095AC: 0A920B49
	v_mul_f32_e32 v74, v74, v6                                 // 0000000095B0: 0A940D4A
	v_mul_f32_e32 v75, v75, v7                                 // 0000000095B4: 0A960F4B
	v_mul_f32_e32 v72, v72, v136                               // 0000000095B8: 0A911148
	v_mul_f32_e32 v73, v73, v137                               // 0000000095BC: 0A931349
	v_mul_f32_e32 v74, v74, v138                               // 0000000095C0: 0A95154A
	v_mul_f32_e32 v75, v75, v139                               // 0000000095C4: 0A97174B
	v_pk_mul_f32 v[4:5], v[76:77], v[76:77]                    // 0000000095C8: D3B14004 1802994C
	v_pk_mul_f32 v[6:7], v[78:79], v[78:79]                    // 0000000095D0: D3B14006 18029D4E
	v_pk_fma_f32 v[4:5], v[4:5], s[78:79], v[8:9]              // 0000000095D8: D3B04004 1C209D04
	v_pk_fma_f32 v[6:7], v[6:7], s[78:79], v[8:9]              // 0000000095E0: D3B04006 1C209D06
	v_pk_mul_f32 v[4:5], v[4:5], v[76:77]                      // 0000000095E8: D3B14004 18029904
	v_pk_mul_f32 v[6:7], v[6:7], v[78:79]                      // 0000000095F0: D3B14006 18029D06
	v_pk_mul_f32 v[4:5], v[4:5], s[60:61]                      // 0000000095F8: D3B14004 18007904
	v_pk_mul_f32 v[6:7], v[6:7], s[60:61]                      // 000000009600: D3B14006 18007906
	v_exp_f32_e32 v4, v4                                       // 000000009608: 7E084104
	v_exp_f32_e32 v5, v5                                       // 00000000960C: 7E0A4105
	v_exp_f32_e32 v6, v6                                       // 000000009610: 7E0C4106
	v_exp_f32_e32 v7, v7                                       // 000000009614: 7E0E4107
	v_add_f32_e64 v4, v4, 1.0                                  // 000000009618: D1010004 0001E504
	v_add_f32_e64 v5, v5, 1.0                                  // 000000009620: D1010005 0001E505
	v_add_f32_e64 v6, v6, 1.0                                  // 000000009628: D1010006 0001E506
	v_add_f32_e64 v7, v7, 1.0                                  // 000000009630: D1010007 0001E507
	v_rcp_f32_e32 v4, v4                                       // 000000009638: 7E084504
	v_rcp_f32_e32 v5, v5                                       // 00000000963C: 7E0A4505
	v_rcp_f32_e32 v6, v6                                       // 000000009640: 7E0C4506
	v_rcp_f32_e32 v7, v7                                       // 000000009644: 7E0E4507
	v_mul_f32_e32 v76, v76, v4                                 // 000000009648: 0A98094C
	v_mul_f32_e32 v77, v77, v5                                 // 00000000964C: 0A9A0B4D
	v_mul_f32_e32 v78, v78, v6                                 // 000000009650: 0A9C0D4E
	v_mul_f32_e32 v79, v79, v7                                 // 000000009654: 0A9E0F4F
	v_mul_f32_e32 v76, v76, v140                               // 000000009658: 0A99194C
	v_mul_f32_e32 v77, v77, v141                               // 00000000965C: 0A9B1B4D
	v_mul_f32_e32 v78, v78, v142                               // 000000009660: 0A9D1D4E
	v_mul_f32_e32 v79, v79, v143                               // 000000009664: 0A9F1F4F
	v_pk_mul_f32 v[4:5], v[80:81], v[80:81]                    // 000000009668: D3B14004 1802A150
	v_pk_mul_f32 v[6:7], v[82:83], v[82:83]                    // 000000009670: D3B14006 1802A552
	v_pk_fma_f32 v[4:5], v[4:5], s[78:79], v[8:9]              // 000000009678: D3B04004 1C209D04
	v_pk_fma_f32 v[6:7], v[6:7], s[78:79], v[8:9]              // 000000009680: D3B04006 1C209D06
	v_pk_mul_f32 v[4:5], v[4:5], v[80:81]                      // 000000009688: D3B14004 1802A104
	v_pk_mul_f32 v[6:7], v[6:7], v[82:83]                      // 000000009690: D3B14006 1802A506
	v_pk_mul_f32 v[4:5], v[4:5], s[60:61]                      // 000000009698: D3B14004 18007904
	v_pk_mul_f32 v[6:7], v[6:7], s[60:61]                      // 0000000096A0: D3B14006 18007906
	v_exp_f32_e32 v4, v4                                       // 0000000096A8: 7E084104
	v_exp_f32_e32 v5, v5                                       // 0000000096AC: 7E0A4105
	v_exp_f32_e32 v6, v6                                       // 0000000096B0: 7E0C4106
	v_exp_f32_e32 v7, v7                                       // 0000000096B4: 7E0E4107
	v_add_f32_e64 v4, v4, 1.0                                  // 0000000096B8: D1010004 0001E504
	v_add_f32_e64 v5, v5, 1.0                                  // 0000000096C0: D1010005 0001E505
	v_add_f32_e64 v6, v6, 1.0                                  // 0000000096C8: D1010006 0001E506
	v_add_f32_e64 v7, v7, 1.0                                  // 0000000096D0: D1010007 0001E507
	v_rcp_f32_e32 v4, v4                                       // 0000000096D8: 7E084504
	v_rcp_f32_e32 v5, v5                                       // 0000000096DC: 7E0A4505
	v_rcp_f32_e32 v6, v6                                       // 0000000096E0: 7E0C4506
	v_rcp_f32_e32 v7, v7                                       // 0000000096E4: 7E0E4507
	v_mul_f32_e32 v80, v80, v4                                 // 0000000096E8: 0AA00950
	v_mul_f32_e32 v81, v81, v5                                 // 0000000096EC: 0AA20B51
	v_mul_f32_e32 v82, v82, v6                                 // 0000000096F0: 0AA40D52
	v_mul_f32_e32 v83, v83, v7                                 // 0000000096F4: 0AA60F53
	v_mul_f32_e32 v80, v80, v144                               // 0000000096F8: 0AA12150
	v_mul_f32_e32 v81, v81, v145                               // 0000000096FC: 0AA32351
	v_mul_f32_e32 v82, v82, v146                               // 000000009700: 0AA52552
	v_mul_f32_e32 v83, v83, v147                               // 000000009704: 0AA72753
	v_pk_mul_f32 v[4:5], v[84:85], v[84:85]                    // 000000009708: D3B14004 1802A954
	v_pk_mul_f32 v[6:7], v[86:87], v[86:87]                    // 000000009710: D3B14006 1802AD56
	v_pk_fma_f32 v[4:5], v[4:5], s[78:79], v[8:9]              // 000000009718: D3B04004 1C209D04
	v_pk_fma_f32 v[6:7], v[6:7], s[78:79], v[8:9]              // 000000009720: D3B04006 1C209D06
	v_pk_mul_f32 v[4:5], v[4:5], v[84:85]                      // 000000009728: D3B14004 1802A904
	v_pk_mul_f32 v[6:7], v[6:7], v[86:87]                      // 000000009730: D3B14006 1802AD06
	v_pk_mul_f32 v[4:5], v[4:5], s[60:61]                      // 000000009738: D3B14004 18007904
	v_pk_mul_f32 v[6:7], v[6:7], s[60:61]                      // 000000009740: D3B14006 18007906
	v_exp_f32_e32 v4, v4                                       // 000000009748: 7E084104
	v_exp_f32_e32 v5, v5                                       // 00000000974C: 7E0A4105
	v_exp_f32_e32 v6, v6                                       // 000000009750: 7E0C4106
	v_exp_f32_e32 v7, v7                                       // 000000009754: 7E0E4107
	v_add_f32_e64 v4, v4, 1.0                                  // 000000009758: D1010004 0001E504
	v_add_f32_e64 v5, v5, 1.0                                  // 000000009760: D1010005 0001E505
	v_add_f32_e64 v6, v6, 1.0                                  // 000000009768: D1010006 0001E506
	v_add_f32_e64 v7, v7, 1.0                                  // 000000009770: D1010007 0001E507
	v_rcp_f32_e32 v4, v4                                       // 000000009778: 7E084504
	v_rcp_f32_e32 v5, v5                                       // 00000000977C: 7E0A4505
	v_rcp_f32_e32 v6, v6                                       // 000000009780: 7E0C4506
	v_rcp_f32_e32 v7, v7                                       // 000000009784: 7E0E4507
	v_mul_f32_e32 v84, v84, v4                                 // 000000009788: 0AA80954
	v_mul_f32_e32 v85, v85, v5                                 // 00000000978C: 0AAA0B55
	v_mul_f32_e32 v86, v86, v6                                 // 000000009790: 0AAC0D56
	v_mul_f32_e32 v87, v87, v7                                 // 000000009794: 0AAE0F57
	v_mul_f32_e32 v84, v84, v148                               // 000000009798: 0AA92954
	v_mul_f32_e32 v85, v85, v149                               // 00000000979C: 0AAB2B55
	v_mul_f32_e32 v86, v86, v150                               // 0000000097A0: 0AAD2D56
	v_mul_f32_e32 v87, v87, v151                               // 0000000097A4: 0AAF2F57
	v_pk_mul_f32 v[4:5], v[88:89], v[88:89]                    // 0000000097A8: D3B14004 1802B158
	v_pk_mul_f32 v[6:7], v[90:91], v[90:91]                    // 0000000097B0: D3B14006 1802B55A
	v_pk_fma_f32 v[4:5], v[4:5], s[78:79], v[8:9]              // 0000000097B8: D3B04004 1C209D04
	v_pk_fma_f32 v[6:7], v[6:7], s[78:79], v[8:9]              // 0000000097C0: D3B04006 1C209D06
	v_pk_mul_f32 v[4:5], v[4:5], v[88:89]                      // 0000000097C8: D3B14004 1802B104
	v_pk_mul_f32 v[6:7], v[6:7], v[90:91]                      // 0000000097D0: D3B14006 1802B506
	v_pk_mul_f32 v[4:5], v[4:5], s[60:61]                      // 0000000097D8: D3B14004 18007904
	v_pk_mul_f32 v[6:7], v[6:7], s[60:61]                      // 0000000097E0: D3B14006 18007906
	v_exp_f32_e32 v4, v4                                       // 0000000097E8: 7E084104
	v_exp_f32_e32 v5, v5                                       // 0000000097EC: 7E0A4105
	v_exp_f32_e32 v6, v6                                       // 0000000097F0: 7E0C4106
	v_exp_f32_e32 v7, v7                                       // 0000000097F4: 7E0E4107
	v_add_f32_e64 v4, v4, 1.0                                  // 0000000097F8: D1010004 0001E504
	v_add_f32_e64 v5, v5, 1.0                                  // 000000009800: D1010005 0001E505
	v_add_f32_e64 v6, v6, 1.0                                  // 000000009808: D1010006 0001E506
	v_add_f32_e64 v7, v7, 1.0                                  // 000000009810: D1010007 0001E507
	v_rcp_f32_e32 v4, v4                                       // 000000009818: 7E084504
	v_rcp_f32_e32 v5, v5                                       // 00000000981C: 7E0A4505
	v_rcp_f32_e32 v6, v6                                       // 000000009820: 7E0C4506
	v_rcp_f32_e32 v7, v7                                       // 000000009824: 7E0E4507
	v_mul_f32_e32 v88, v88, v4                                 // 000000009828: 0AB00958
	v_mul_f32_e32 v89, v89, v5                                 // 00000000982C: 0AB20B59
	v_mul_f32_e32 v90, v90, v6                                 // 000000009830: 0AB40D5A
	v_mul_f32_e32 v91, v91, v7                                 // 000000009834: 0AB60F5B
	v_mul_f32_e32 v88, v88, v152                               // 000000009838: 0AB13158
	v_mul_f32_e32 v89, v89, v153                               // 00000000983C: 0AB33359
	v_mul_f32_e32 v90, v90, v154                               // 000000009840: 0AB5355A
	v_mul_f32_e32 v91, v91, v155                               // 000000009844: 0AB7375B
	v_pk_mul_f32 v[4:5], v[92:93], v[92:93]                    // 000000009848: D3B14004 1802B95C
	v_pk_mul_f32 v[6:7], v[94:95], v[94:95]                    // 000000009850: D3B14006 1802BD5E
	v_pk_fma_f32 v[4:5], v[4:5], s[78:79], v[8:9]              // 000000009858: D3B04004 1C209D04
	v_pk_fma_f32 v[6:7], v[6:7], s[78:79], v[8:9]              // 000000009860: D3B04006 1C209D06
	v_pk_mul_f32 v[4:5], v[4:5], v[92:93]                      // 000000009868: D3B14004 1802B904
	v_pk_mul_f32 v[6:7], v[6:7], v[94:95]                      // 000000009870: D3B14006 1802BD06
	v_pk_mul_f32 v[4:5], v[4:5], s[60:61]                      // 000000009878: D3B14004 18007904
	v_pk_mul_f32 v[6:7], v[6:7], s[60:61]                      // 000000009880: D3B14006 18007906
	v_exp_f32_e32 v4, v4                                       // 000000009888: 7E084104
	v_exp_f32_e32 v5, v5                                       // 00000000988C: 7E0A4105
	v_exp_f32_e32 v6, v6                                       // 000000009890: 7E0C4106
	v_exp_f32_e32 v7, v7                                       // 000000009894: 7E0E4107
	v_add_f32_e64 v4, v4, 1.0                                  // 000000009898: D1010004 0001E504
	v_add_f32_e64 v5, v5, 1.0                                  // 0000000098A0: D1010005 0001E505
	v_add_f32_e64 v6, v6, 1.0                                  // 0000000098A8: D1010006 0001E506
	v_add_f32_e64 v7, v7, 1.0                                  // 0000000098B0: D1010007 0001E507
	v_rcp_f32_e32 v4, v4                                       // 0000000098B8: 7E084504
	v_rcp_f32_e32 v5, v5                                       // 0000000098BC: 7E0A4505
	v_rcp_f32_e32 v6, v6                                       // 0000000098C0: 7E0C4506
	v_rcp_f32_e32 v7, v7                                       // 0000000098C4: 7E0E4507
	v_mul_f32_e32 v92, v92, v4                                 // 0000000098C8: 0AB8095C
	v_mul_f32_e32 v93, v93, v5                                 // 0000000098CC: 0ABA0B5D
	v_mul_f32_e32 v94, v94, v6                                 // 0000000098D0: 0ABC0D5E
	v_mul_f32_e32 v95, v95, v7                                 // 0000000098D4: 0ABE0F5F
	v_mul_f32_e32 v92, v92, v156                               // 0000000098D8: 0AB9395C
	v_mul_f32_e32 v93, v93, v157                               // 0000000098DC: 0ABB3B5D
	v_mul_f32_e32 v94, v94, v158                               // 0000000098E0: 0ABD3D5E
	v_mul_f32_e32 v95, v95, v159                               // 0000000098E4: 0ABF3F5F
	v_pk_mul_f32 v[4:5], v[96:97], v[96:97]                    // 0000000098E8: D3B14004 1802C160
	v_pk_mul_f32 v[6:7], v[98:99], v[98:99]                    // 0000000098F0: D3B14006 1802C562
	v_pk_fma_f32 v[4:5], v[4:5], s[78:79], v[8:9]              // 0000000098F8: D3B04004 1C209D04
	v_pk_fma_f32 v[6:7], v[6:7], s[78:79], v[8:9]              // 000000009900: D3B04006 1C209D06
	v_pk_mul_f32 v[4:5], v[4:5], v[96:97]                      // 000000009908: D3B14004 1802C104
	v_pk_mul_f32 v[6:7], v[6:7], v[98:99]                      // 000000009910: D3B14006 1802C506
	v_pk_mul_f32 v[4:5], v[4:5], s[60:61]                      // 000000009918: D3B14004 18007904
	v_pk_mul_f32 v[6:7], v[6:7], s[60:61]                      // 000000009920: D3B14006 18007906
	v_exp_f32_e32 v4, v4                                       // 000000009928: 7E084104
	v_exp_f32_e32 v5, v5                                       // 00000000992C: 7E0A4105
	v_exp_f32_e32 v6, v6                                       // 000000009930: 7E0C4106
	v_exp_f32_e32 v7, v7                                       // 000000009934: 7E0E4107
	v_add_f32_e64 v4, v4, 1.0                                  // 000000009938: D1010004 0001E504
	v_add_f32_e64 v5, v5, 1.0                                  // 000000009940: D1010005 0001E505
	v_add_f32_e64 v6, v6, 1.0                                  // 000000009948: D1010006 0001E506
	v_add_f32_e64 v7, v7, 1.0                                  // 000000009950: D1010007 0001E507
	v_rcp_f32_e32 v4, v4                                       // 000000009958: 7E084504
	v_rcp_f32_e32 v5, v5                                       // 00000000995C: 7E0A4505
	v_rcp_f32_e32 v6, v6                                       // 000000009960: 7E0C4506
	v_rcp_f32_e32 v7, v7                                       // 000000009964: 7E0E4507
	v_mul_f32_e32 v96, v96, v4                                 // 000000009968: 0AC00960
	v_mul_f32_e32 v97, v97, v5                                 // 00000000996C: 0AC20B61
	v_mul_f32_e32 v98, v98, v6                                 // 000000009970: 0AC40D62
	v_mul_f32_e32 v99, v99, v7                                 // 000000009974: 0AC60F63
	v_mul_f32_e32 v96, v96, v160                               // 000000009978: 0AC14160
	v_mul_f32_e32 v97, v97, v161                               // 00000000997C: 0AC34361
	v_mul_f32_e32 v98, v98, v162                               // 000000009980: 0AC54562
	v_mul_f32_e32 v99, v99, v163                               // 000000009984: 0AC74763
	v_pk_mul_f32 v[4:5], v[100:101], v[100:101]                // 000000009988: D3B14004 1802C964
	v_pk_mul_f32 v[6:7], v[102:103], v[102:103]                // 000000009990: D3B14006 1802CD66
	v_pk_fma_f32 v[4:5], v[4:5], s[78:79], v[8:9]              // 000000009998: D3B04004 1C209D04
	v_pk_fma_f32 v[6:7], v[6:7], s[78:79], v[8:9]              // 0000000099A0: D3B04006 1C209D06
	v_pk_mul_f32 v[4:5], v[4:5], v[100:101]                    // 0000000099A8: D3B14004 1802C904
	v_pk_mul_f32 v[6:7], v[6:7], v[102:103]                    // 0000000099B0: D3B14006 1802CD06
	v_pk_mul_f32 v[4:5], v[4:5], s[60:61]                      // 0000000099B8: D3B14004 18007904
	v_pk_mul_f32 v[6:7], v[6:7], s[60:61]                      // 0000000099C0: D3B14006 18007906
	v_exp_f32_e32 v4, v4                                       // 0000000099C8: 7E084104
	v_exp_f32_e32 v5, v5                                       // 0000000099CC: 7E0A4105
	v_exp_f32_e32 v6, v6                                       // 0000000099D0: 7E0C4106
	v_exp_f32_e32 v7, v7                                       // 0000000099D4: 7E0E4107
	v_add_f32_e64 v4, v4, 1.0                                  // 0000000099D8: D1010004 0001E504
	v_add_f32_e64 v5, v5, 1.0                                  // 0000000099E0: D1010005 0001E505
	v_add_f32_e64 v6, v6, 1.0                                  // 0000000099E8: D1010006 0001E506
	v_add_f32_e64 v7, v7, 1.0                                  // 0000000099F0: D1010007 0001E507
	v_rcp_f32_e32 v4, v4                                       // 0000000099F8: 7E084504
	v_rcp_f32_e32 v5, v5                                       // 0000000099FC: 7E0A4505
	v_rcp_f32_e32 v6, v6                                       // 000000009A00: 7E0C4506
	v_rcp_f32_e32 v7, v7                                       // 000000009A04: 7E0E4507
	v_mul_f32_e32 v100, v100, v4                               // 000000009A08: 0AC80964
	v_mul_f32_e32 v101, v101, v5                               // 000000009A0C: 0ACA0B65
	v_mul_f32_e32 v102, v102, v6                               // 000000009A10: 0ACC0D66
	v_mul_f32_e32 v103, v103, v7                               // 000000009A14: 0ACE0F67
	v_mul_f32_e32 v100, v100, v164                             // 000000009A18: 0AC94964
	v_mul_f32_e32 v101, v101, v165                             // 000000009A1C: 0ACB4B65
	v_mul_f32_e32 v102, v102, v166                             // 000000009A20: 0ACD4D66
	v_mul_f32_e32 v103, v103, v167                             // 000000009A24: 0ACF4F67
	v_pk_mul_f32 v[4:5], v[104:105], v[104:105]                // 000000009A28: D3B14004 1802D168
	v_pk_mul_f32 v[6:7], v[106:107], v[106:107]                // 000000009A30: D3B14006 1802D56A
	v_pk_fma_f32 v[4:5], v[4:5], s[78:79], v[8:9]              // 000000009A38: D3B04004 1C209D04
	v_pk_fma_f32 v[6:7], v[6:7], s[78:79], v[8:9]              // 000000009A40: D3B04006 1C209D06
	v_pk_mul_f32 v[4:5], v[4:5], v[104:105]                    // 000000009A48: D3B14004 1802D104
	v_pk_mul_f32 v[6:7], v[6:7], v[106:107]                    // 000000009A50: D3B14006 1802D506
	v_pk_mul_f32 v[4:5], v[4:5], s[60:61]                      // 000000009A58: D3B14004 18007904
	v_pk_mul_f32 v[6:7], v[6:7], s[60:61]                      // 000000009A60: D3B14006 18007906
	v_exp_f32_e32 v4, v4                                       // 000000009A68: 7E084104
	v_exp_f32_e32 v5, v5                                       // 000000009A6C: 7E0A4105
	v_exp_f32_e32 v6, v6                                       // 000000009A70: 7E0C4106
	v_exp_f32_e32 v7, v7                                       // 000000009A74: 7E0E4107
	v_add_f32_e64 v4, v4, 1.0                                  // 000000009A78: D1010004 0001E504
	v_add_f32_e64 v5, v5, 1.0                                  // 000000009A80: D1010005 0001E505
	v_add_f32_e64 v6, v6, 1.0                                  // 000000009A88: D1010006 0001E506
	v_add_f32_e64 v7, v7, 1.0                                  // 000000009A90: D1010007 0001E507
	v_rcp_f32_e32 v4, v4                                       // 000000009A98: 7E084504
	v_rcp_f32_e32 v5, v5                                       // 000000009A9C: 7E0A4505
	v_rcp_f32_e32 v6, v6                                       // 000000009AA0: 7E0C4506
	v_rcp_f32_e32 v7, v7                                       // 000000009AA4: 7E0E4507
	v_mul_f32_e32 v104, v104, v4                               // 000000009AA8: 0AD00968
	v_mul_f32_e32 v105, v105, v5                               // 000000009AAC: 0AD20B69
	v_mul_f32_e32 v106, v106, v6                               // 000000009AB0: 0AD40D6A
	v_mul_f32_e32 v107, v107, v7                               // 000000009AB4: 0AD60F6B
	v_mul_f32_e32 v104, v104, v168                             // 000000009AB8: 0AD15168
	v_mul_f32_e32 v105, v105, v169                             // 000000009ABC: 0AD35369
	v_mul_f32_e32 v106, v106, v170                             // 000000009AC0: 0AD5556A
	v_mul_f32_e32 v107, v107, v171                             // 000000009AC4: 0AD7576B
	v_pk_mul_f32 v[4:5], v[108:109], v[108:109]                // 000000009AC8: D3B14004 1802D96C
	v_pk_mul_f32 v[6:7], v[110:111], v[110:111]                // 000000009AD0: D3B14006 1802DD6E
	v_pk_fma_f32 v[4:5], v[4:5], s[78:79], v[8:9]              // 000000009AD8: D3B04004 1C209D04
	v_pk_fma_f32 v[6:7], v[6:7], s[78:79], v[8:9]              // 000000009AE0: D3B04006 1C209D06
	v_pk_mul_f32 v[4:5], v[4:5], v[108:109]                    // 000000009AE8: D3B14004 1802D904
	v_pk_mul_f32 v[6:7], v[6:7], v[110:111]                    // 000000009AF0: D3B14006 1802DD06
	v_pk_mul_f32 v[4:5], v[4:5], s[60:61]                      // 000000009AF8: D3B14004 18007904
	v_pk_mul_f32 v[6:7], v[6:7], s[60:61]                      // 000000009B00: D3B14006 18007906
	v_exp_f32_e32 v4, v4                                       // 000000009B08: 7E084104
	v_exp_f32_e32 v5, v5                                       // 000000009B0C: 7E0A4105
	v_exp_f32_e32 v6, v6                                       // 000000009B10: 7E0C4106
	v_exp_f32_e32 v7, v7                                       // 000000009B14: 7E0E4107
	v_add_f32_e64 v4, v4, 1.0                                  // 000000009B18: D1010004 0001E504
	v_add_f32_e64 v5, v5, 1.0                                  // 000000009B20: D1010005 0001E505
	v_add_f32_e64 v6, v6, 1.0                                  // 000000009B28: D1010006 0001E506
	v_add_f32_e64 v7, v7, 1.0                                  // 000000009B30: D1010007 0001E507
	v_rcp_f32_e32 v4, v4                                       // 000000009B38: 7E084504
	v_rcp_f32_e32 v5, v5                                       // 000000009B3C: 7E0A4505
	v_rcp_f32_e32 v6, v6                                       // 000000009B40: 7E0C4506
	v_rcp_f32_e32 v7, v7                                       // 000000009B44: 7E0E4507
	v_mul_f32_e32 v108, v108, v4                               // 000000009B48: 0AD8096C
	v_mul_f32_e32 v109, v109, v5                               // 000000009B4C: 0ADA0B6D
	v_mul_f32_e32 v110, v110, v6                               // 000000009B50: 0ADC0D6E
	v_mul_f32_e32 v111, v111, v7                               // 000000009B54: 0ADE0F6F
	v_mul_f32_e32 v108, v108, v172                             // 000000009B58: 0AD9596C
	v_mul_f32_e32 v109, v109, v173                             // 000000009B5C: 0ADB5B6D
	v_mul_f32_e32 v110, v110, v174                             // 000000009B60: 0ADD5D6E
	v_mul_f32_e32 v111, v111, v175                             // 000000009B64: 0ADF5F6F
	s_branch label_1E5E                                        // 000000009B68: BF820200

0000000000009b6c <label_1C5E>:
	v_mul_f32_e64 v4, -v48, s6                                 // 000000009B6C: D1050004 20000D30
	v_mul_f32_e64 v5, -v49, s6                                 // 000000009B74: D1050005 20000D31
	v_mul_f32_e64 v6, -v50, s6                                 // 000000009B7C: D1050006 20000D32
	v_mul_f32_e64 v7, -v51, s6                                 // 000000009B84: D1050007 20000D33
	v_exp_f32_e32 v4, v4                                       // 000000009B8C: 7E084104
	v_exp_f32_e32 v5, v5                                       // 000000009B90: 7E0A4105
	v_exp_f32_e32 v6, v6                                       // 000000009B94: 7E0C4106
	v_exp_f32_e32 v7, v7                                       // 000000009B98: 7E0E4107
	v_add_f32_e64 v4, v4, 1.0                                  // 000000009B9C: D1010004 0001E504
	v_add_f32_e64 v5, v5, 1.0                                  // 000000009BA4: D1010005 0001E505
	v_add_f32_e64 v6, v6, 1.0                                  // 000000009BAC: D1010006 0001E506
	v_add_f32_e64 v7, v7, 1.0                                  // 000000009BB4: D1010007 0001E507
	v_rcp_f32_e32 v4, v4                                       // 000000009BBC: 7E084504
	v_rcp_f32_e32 v5, v5                                       // 000000009BC0: 7E0A4505
	v_rcp_f32_e32 v6, v6                                       // 000000009BC4: 7E0C4506
	v_rcp_f32_e32 v7, v7                                       // 000000009BC8: 7E0E4507
	v_mul_f32_e32 v48, v48, v4                                 // 000000009BCC: 0A600930
	v_mul_f32_e32 v49, v49, v5                                 // 000000009BD0: 0A620B31
	v_mul_f32_e32 v50, v50, v6                                 // 000000009BD4: 0A640D32
	v_mul_f32_e32 v51, v51, v7                                 // 000000009BD8: 0A660F33
	v_mul_f32_e32 v48, v48, v112                               // 000000009BDC: 0A60E130
	v_mul_f32_e32 v49, v49, v113                               // 000000009BE0: 0A62E331
	v_mul_f32_e32 v50, v50, v114                               // 000000009BE4: 0A64E532
	v_mul_f32_e32 v51, v51, v115                               // 000000009BE8: 0A66E733
	v_mul_f32_e64 v4, -v52, s6                                 // 000000009BEC: D1050004 20000D34
	v_mul_f32_e64 v5, -v53, s6                                 // 000000009BF4: D1050005 20000D35
	v_mul_f32_e64 v6, -v54, s6                                 // 000000009BFC: D1050006 20000D36
	v_mul_f32_e64 v7, -v55, s6                                 // 000000009C04: D1050007 20000D37
	v_exp_f32_e32 v4, v4                                       // 000000009C0C: 7E084104
	v_exp_f32_e32 v5, v5                                       // 000000009C10: 7E0A4105
	v_exp_f32_e32 v6, v6                                       // 000000009C14: 7E0C4106
	v_exp_f32_e32 v7, v7                                       // 000000009C18: 7E0E4107
	v_add_f32_e64 v4, v4, 1.0                                  // 000000009C1C: D1010004 0001E504
	v_add_f32_e64 v5, v5, 1.0                                  // 000000009C24: D1010005 0001E505
	v_add_f32_e64 v6, v6, 1.0                                  // 000000009C2C: D1010006 0001E506
	v_add_f32_e64 v7, v7, 1.0                                  // 000000009C34: D1010007 0001E507
	v_rcp_f32_e32 v4, v4                                       // 000000009C3C: 7E084504
	v_rcp_f32_e32 v5, v5                                       // 000000009C40: 7E0A4505
	v_rcp_f32_e32 v6, v6                                       // 000000009C44: 7E0C4506
	v_rcp_f32_e32 v7, v7                                       // 000000009C48: 7E0E4507
	v_mul_f32_e32 v52, v52, v4                                 // 000000009C4C: 0A680934
	v_mul_f32_e32 v53, v53, v5                                 // 000000009C50: 0A6A0B35
	v_mul_f32_e32 v54, v54, v6                                 // 000000009C54: 0A6C0D36
	v_mul_f32_e32 v55, v55, v7                                 // 000000009C58: 0A6E0F37
	v_mul_f32_e32 v52, v52, v116                               // 000000009C5C: 0A68E934
	v_mul_f32_e32 v53, v53, v117                               // 000000009C60: 0A6AEB35
	v_mul_f32_e32 v54, v54, v118                               // 000000009C64: 0A6CED36
	v_mul_f32_e32 v55, v55, v119                               // 000000009C68: 0A6EEF37
	v_mul_f32_e64 v4, -v56, s6                                 // 000000009C6C: D1050004 20000D38
	v_mul_f32_e64 v5, -v57, s6                                 // 000000009C74: D1050005 20000D39
	v_mul_f32_e64 v6, -v58, s6                                 // 000000009C7C: D1050006 20000D3A
	v_mul_f32_e64 v7, -v59, s6                                 // 000000009C84: D1050007 20000D3B
	v_exp_f32_e32 v4, v4                                       // 000000009C8C: 7E084104
	v_exp_f32_e32 v5, v5                                       // 000000009C90: 7E0A4105
	v_exp_f32_e32 v6, v6                                       // 000000009C94: 7E0C4106
	v_exp_f32_e32 v7, v7                                       // 000000009C98: 7E0E4107
	v_add_f32_e64 v4, v4, 1.0                                  // 000000009C9C: D1010004 0001E504
	v_add_f32_e64 v5, v5, 1.0                                  // 000000009CA4: D1010005 0001E505
	v_add_f32_e64 v6, v6, 1.0                                  // 000000009CAC: D1010006 0001E506
	v_add_f32_e64 v7, v7, 1.0                                  // 000000009CB4: D1010007 0001E507
	v_rcp_f32_e32 v4, v4                                       // 000000009CBC: 7E084504
	v_rcp_f32_e32 v5, v5                                       // 000000009CC0: 7E0A4505
	v_rcp_f32_e32 v6, v6                                       // 000000009CC4: 7E0C4506
	v_rcp_f32_e32 v7, v7                                       // 000000009CC8: 7E0E4507
	v_mul_f32_e32 v56, v56, v4                                 // 000000009CCC: 0A700938
	v_mul_f32_e32 v57, v57, v5                                 // 000000009CD0: 0A720B39
	v_mul_f32_e32 v58, v58, v6                                 // 000000009CD4: 0A740D3A
	v_mul_f32_e32 v59, v59, v7                                 // 000000009CD8: 0A760F3B
	v_mul_f32_e32 v56, v56, v120                               // 000000009CDC: 0A70F138
	v_mul_f32_e32 v57, v57, v121                               // 000000009CE0: 0A72F339
	v_mul_f32_e32 v58, v58, v122                               // 000000009CE4: 0A74F53A
	v_mul_f32_e32 v59, v59, v123                               // 000000009CE8: 0A76F73B
	v_mul_f32_e64 v4, -v60, s6                                 // 000000009CEC: D1050004 20000D3C
	v_mul_f32_e64 v5, -v61, s6                                 // 000000009CF4: D1050005 20000D3D
	v_mul_f32_e64 v6, -v62, s6                                 // 000000009CFC: D1050006 20000D3E
	v_mul_f32_e64 v7, -v63, s6                                 // 000000009D04: D1050007 20000D3F
	v_exp_f32_e32 v4, v4                                       // 000000009D0C: 7E084104
	v_exp_f32_e32 v5, v5                                       // 000000009D10: 7E0A4105
	v_exp_f32_e32 v6, v6                                       // 000000009D14: 7E0C4106
	v_exp_f32_e32 v7, v7                                       // 000000009D18: 7E0E4107
	v_add_f32_e64 v4, v4, 1.0                                  // 000000009D1C: D1010004 0001E504
	v_add_f32_e64 v5, v5, 1.0                                  // 000000009D24: D1010005 0001E505
	v_add_f32_e64 v6, v6, 1.0                                  // 000000009D2C: D1010006 0001E506
	v_add_f32_e64 v7, v7, 1.0                                  // 000000009D34: D1010007 0001E507
	v_rcp_f32_e32 v4, v4                                       // 000000009D3C: 7E084504
	v_rcp_f32_e32 v5, v5                                       // 000000009D40: 7E0A4505
	v_rcp_f32_e32 v6, v6                                       // 000000009D44: 7E0C4506
	v_rcp_f32_e32 v7, v7                                       // 000000009D48: 7E0E4507
	v_mul_f32_e32 v60, v60, v4                                 // 000000009D4C: 0A78093C
	v_mul_f32_e32 v61, v61, v5                                 // 000000009D50: 0A7A0B3D
	v_mul_f32_e32 v62, v62, v6                                 // 000000009D54: 0A7C0D3E
	v_mul_f32_e32 v63, v63, v7                                 // 000000009D58: 0A7E0F3F
	v_mul_f32_e32 v60, v60, v124                               // 000000009D5C: 0A78F93C
	v_mul_f32_e32 v61, v61, v125                               // 000000009D60: 0A7AFB3D
	v_mul_f32_e32 v62, v62, v126                               // 000000009D64: 0A7CFD3E
	v_mul_f32_e32 v63, v63, v127                               // 000000009D68: 0A7EFF3F
	v_mul_f32_e64 v4, -v64, s6                                 // 000000009D6C: D1050004 20000D40
	v_mul_f32_e64 v5, -v65, s6                                 // 000000009D74: D1050005 20000D41
	v_mul_f32_e64 v6, -v66, s6                                 // 000000009D7C: D1050006 20000D42
	v_mul_f32_e64 v7, -v67, s6                                 // 000000009D84: D1050007 20000D43
	v_exp_f32_e32 v4, v4                                       // 000000009D8C: 7E084104
	v_exp_f32_e32 v5, v5                                       // 000000009D90: 7E0A4105
	v_exp_f32_e32 v6, v6                                       // 000000009D94: 7E0C4106
	v_exp_f32_e32 v7, v7                                       // 000000009D98: 7E0E4107
	v_add_f32_e64 v4, v4, 1.0                                  // 000000009D9C: D1010004 0001E504
	v_add_f32_e64 v5, v5, 1.0                                  // 000000009DA4: D1010005 0001E505
	v_add_f32_e64 v6, v6, 1.0                                  // 000000009DAC: D1010006 0001E506
	v_add_f32_e64 v7, v7, 1.0                                  // 000000009DB4: D1010007 0001E507
	v_rcp_f32_e32 v4, v4                                       // 000000009DBC: 7E084504
	v_rcp_f32_e32 v5, v5                                       // 000000009DC0: 7E0A4505
	v_rcp_f32_e32 v6, v6                                       // 000000009DC4: 7E0C4506
	v_rcp_f32_e32 v7, v7                                       // 000000009DC8: 7E0E4507
	v_mul_f32_e32 v64, v64, v4                                 // 000000009DCC: 0A800940
	v_mul_f32_e32 v65, v65, v5                                 // 000000009DD0: 0A820B41
	v_mul_f32_e32 v66, v66, v6                                 // 000000009DD4: 0A840D42
	v_mul_f32_e32 v67, v67, v7                                 // 000000009DD8: 0A860F43
	v_mul_f32_e32 v64, v64, v128                               // 000000009DDC: 0A810140
	v_mul_f32_e32 v65, v65, v129                               // 000000009DE0: 0A830341
	v_mul_f32_e32 v66, v66, v130                               // 000000009DE4: 0A850542
	v_mul_f32_e32 v67, v67, v131                               // 000000009DE8: 0A870743
	v_mul_f32_e64 v4, -v68, s6                                 // 000000009DEC: D1050004 20000D44
	v_mul_f32_e64 v5, -v69, s6                                 // 000000009DF4: D1050005 20000D45
	v_mul_f32_e64 v6, -v70, s6                                 // 000000009DFC: D1050006 20000D46
	v_mul_f32_e64 v7, -v71, s6                                 // 000000009E04: D1050007 20000D47
	v_exp_f32_e32 v4, v4                                       // 000000009E0C: 7E084104
	v_exp_f32_e32 v5, v5                                       // 000000009E10: 7E0A4105
	v_exp_f32_e32 v6, v6                                       // 000000009E14: 7E0C4106
	v_exp_f32_e32 v7, v7                                       // 000000009E18: 7E0E4107
	v_add_f32_e64 v4, v4, 1.0                                  // 000000009E1C: D1010004 0001E504
	v_add_f32_e64 v5, v5, 1.0                                  // 000000009E24: D1010005 0001E505
	v_add_f32_e64 v6, v6, 1.0                                  // 000000009E2C: D1010006 0001E506
	v_add_f32_e64 v7, v7, 1.0                                  // 000000009E34: D1010007 0001E507
	v_rcp_f32_e32 v4, v4                                       // 000000009E3C: 7E084504
	v_rcp_f32_e32 v5, v5                                       // 000000009E40: 7E0A4505
	v_rcp_f32_e32 v6, v6                                       // 000000009E44: 7E0C4506
	v_rcp_f32_e32 v7, v7                                       // 000000009E48: 7E0E4507
	v_mul_f32_e32 v68, v68, v4                                 // 000000009E4C: 0A880944
	v_mul_f32_e32 v69, v69, v5                                 // 000000009E50: 0A8A0B45
	v_mul_f32_e32 v70, v70, v6                                 // 000000009E54: 0A8C0D46
	v_mul_f32_e32 v71, v71, v7                                 // 000000009E58: 0A8E0F47
	v_mul_f32_e32 v68, v68, v132                               // 000000009E5C: 0A890944
	v_mul_f32_e32 v69, v69, v133                               // 000000009E60: 0A8B0B45
	v_mul_f32_e32 v70, v70, v134                               // 000000009E64: 0A8D0D46
	v_mul_f32_e32 v71, v71, v135                               // 000000009E68: 0A8F0F47
	v_mul_f32_e64 v4, -v72, s6                                 // 000000009E6C: D1050004 20000D48
	v_mul_f32_e64 v5, -v73, s6                                 // 000000009E74: D1050005 20000D49
	v_mul_f32_e64 v6, -v74, s6                                 // 000000009E7C: D1050006 20000D4A
	v_mul_f32_e64 v7, -v75, s6                                 // 000000009E84: D1050007 20000D4B
	v_exp_f32_e32 v4, v4                                       // 000000009E8C: 7E084104
	v_exp_f32_e32 v5, v5                                       // 000000009E90: 7E0A4105
	v_exp_f32_e32 v6, v6                                       // 000000009E94: 7E0C4106
	v_exp_f32_e32 v7, v7                                       // 000000009E98: 7E0E4107
	v_add_f32_e64 v4, v4, 1.0                                  // 000000009E9C: D1010004 0001E504
	v_add_f32_e64 v5, v5, 1.0                                  // 000000009EA4: D1010005 0001E505
	v_add_f32_e64 v6, v6, 1.0                                  // 000000009EAC: D1010006 0001E506
	v_add_f32_e64 v7, v7, 1.0                                  // 000000009EB4: D1010007 0001E507
	v_rcp_f32_e32 v4, v4                                       // 000000009EBC: 7E084504
	v_rcp_f32_e32 v5, v5                                       // 000000009EC0: 7E0A4505
	v_rcp_f32_e32 v6, v6                                       // 000000009EC4: 7E0C4506
	v_rcp_f32_e32 v7, v7                                       // 000000009EC8: 7E0E4507
	v_mul_f32_e32 v72, v72, v4                                 // 000000009ECC: 0A900948
	v_mul_f32_e32 v73, v73, v5                                 // 000000009ED0: 0A920B49
	v_mul_f32_e32 v74, v74, v6                                 // 000000009ED4: 0A940D4A
	v_mul_f32_e32 v75, v75, v7                                 // 000000009ED8: 0A960F4B
	v_mul_f32_e32 v72, v72, v136                               // 000000009EDC: 0A911148
	v_mul_f32_e32 v73, v73, v137                               // 000000009EE0: 0A931349
	v_mul_f32_e32 v74, v74, v138                               // 000000009EE4: 0A95154A
	v_mul_f32_e32 v75, v75, v139                               // 000000009EE8: 0A97174B
	v_mul_f32_e64 v4, -v76, s6                                 // 000000009EEC: D1050004 20000D4C
	v_mul_f32_e64 v5, -v77, s6                                 // 000000009EF4: D1050005 20000D4D
	v_mul_f32_e64 v6, -v78, s6                                 // 000000009EFC: D1050006 20000D4E
	v_mul_f32_e64 v7, -v79, s6                                 // 000000009F04: D1050007 20000D4F
	v_exp_f32_e32 v4, v4                                       // 000000009F0C: 7E084104
	v_exp_f32_e32 v5, v5                                       // 000000009F10: 7E0A4105
	v_exp_f32_e32 v6, v6                                       // 000000009F14: 7E0C4106
	v_exp_f32_e32 v7, v7                                       // 000000009F18: 7E0E4107
	v_add_f32_e64 v4, v4, 1.0                                  // 000000009F1C: D1010004 0001E504
	v_add_f32_e64 v5, v5, 1.0                                  // 000000009F24: D1010005 0001E505
	v_add_f32_e64 v6, v6, 1.0                                  // 000000009F2C: D1010006 0001E506
	v_add_f32_e64 v7, v7, 1.0                                  // 000000009F34: D1010007 0001E507
	v_rcp_f32_e32 v4, v4                                       // 000000009F3C: 7E084504
	v_rcp_f32_e32 v5, v5                                       // 000000009F40: 7E0A4505
	v_rcp_f32_e32 v6, v6                                       // 000000009F44: 7E0C4506
	v_rcp_f32_e32 v7, v7                                       // 000000009F48: 7E0E4507
	v_mul_f32_e32 v76, v76, v4                                 // 000000009F4C: 0A98094C
	v_mul_f32_e32 v77, v77, v5                                 // 000000009F50: 0A9A0B4D
	v_mul_f32_e32 v78, v78, v6                                 // 000000009F54: 0A9C0D4E
	v_mul_f32_e32 v79, v79, v7                                 // 000000009F58: 0A9E0F4F
	v_mul_f32_e32 v76, v76, v140                               // 000000009F5C: 0A99194C
	v_mul_f32_e32 v77, v77, v141                               // 000000009F60: 0A9B1B4D
	v_mul_f32_e32 v78, v78, v142                               // 000000009F64: 0A9D1D4E
	v_mul_f32_e32 v79, v79, v143                               // 000000009F68: 0A9F1F4F
	v_mul_f32_e64 v4, -v80, s6                                 // 000000009F6C: D1050004 20000D50
	v_mul_f32_e64 v5, -v81, s6                                 // 000000009F74: D1050005 20000D51
	v_mul_f32_e64 v6, -v82, s6                                 // 000000009F7C: D1050006 20000D52
	v_mul_f32_e64 v7, -v83, s6                                 // 000000009F84: D1050007 20000D53
	v_exp_f32_e32 v4, v4                                       // 000000009F8C: 7E084104
	v_exp_f32_e32 v5, v5                                       // 000000009F90: 7E0A4105
	v_exp_f32_e32 v6, v6                                       // 000000009F94: 7E0C4106
	v_exp_f32_e32 v7, v7                                       // 000000009F98: 7E0E4107
	v_add_f32_e64 v4, v4, 1.0                                  // 000000009F9C: D1010004 0001E504
	v_add_f32_e64 v5, v5, 1.0                                  // 000000009FA4: D1010005 0001E505
	v_add_f32_e64 v6, v6, 1.0                                  // 000000009FAC: D1010006 0001E506
	v_add_f32_e64 v7, v7, 1.0                                  // 000000009FB4: D1010007 0001E507
	v_rcp_f32_e32 v4, v4                                       // 000000009FBC: 7E084504
	v_rcp_f32_e32 v5, v5                                       // 000000009FC0: 7E0A4505
	v_rcp_f32_e32 v6, v6                                       // 000000009FC4: 7E0C4506
	v_rcp_f32_e32 v7, v7                                       // 000000009FC8: 7E0E4507
	v_mul_f32_e32 v80, v80, v4                                 // 000000009FCC: 0AA00950
	v_mul_f32_e32 v81, v81, v5                                 // 000000009FD0: 0AA20B51
	v_mul_f32_e32 v82, v82, v6                                 // 000000009FD4: 0AA40D52
	v_mul_f32_e32 v83, v83, v7                                 // 000000009FD8: 0AA60F53
	v_mul_f32_e32 v80, v80, v144                               // 000000009FDC: 0AA12150
	v_mul_f32_e32 v81, v81, v145                               // 000000009FE0: 0AA32351
	v_mul_f32_e32 v82, v82, v146                               // 000000009FE4: 0AA52552
	v_mul_f32_e32 v83, v83, v147                               // 000000009FE8: 0AA72753
	v_mul_f32_e64 v4, -v84, s6                                 // 000000009FEC: D1050004 20000D54
	v_mul_f32_e64 v5, -v85, s6                                 // 000000009FF4: D1050005 20000D55
	v_mul_f32_e64 v6, -v86, s6                                 // 000000009FFC: D1050006 20000D56
	v_mul_f32_e64 v7, -v87, s6                                 // 00000000A004: D1050007 20000D57
	v_exp_f32_e32 v4, v4                                       // 00000000A00C: 7E084104
	v_exp_f32_e32 v5, v5                                       // 00000000A010: 7E0A4105
	v_exp_f32_e32 v6, v6                                       // 00000000A014: 7E0C4106
	v_exp_f32_e32 v7, v7                                       // 00000000A018: 7E0E4107
	v_add_f32_e64 v4, v4, 1.0                                  // 00000000A01C: D1010004 0001E504
	v_add_f32_e64 v5, v5, 1.0                                  // 00000000A024: D1010005 0001E505
	v_add_f32_e64 v6, v6, 1.0                                  // 00000000A02C: D1010006 0001E506
	v_add_f32_e64 v7, v7, 1.0                                  // 00000000A034: D1010007 0001E507
	v_rcp_f32_e32 v4, v4                                       // 00000000A03C: 7E084504
	v_rcp_f32_e32 v5, v5                                       // 00000000A040: 7E0A4505
	v_rcp_f32_e32 v6, v6                                       // 00000000A044: 7E0C4506
	v_rcp_f32_e32 v7, v7                                       // 00000000A048: 7E0E4507
	v_mul_f32_e32 v84, v84, v4                                 // 00000000A04C: 0AA80954
	v_mul_f32_e32 v85, v85, v5                                 // 00000000A050: 0AAA0B55
	v_mul_f32_e32 v86, v86, v6                                 // 00000000A054: 0AAC0D56
	v_mul_f32_e32 v87, v87, v7                                 // 00000000A058: 0AAE0F57
	v_mul_f32_e32 v84, v84, v148                               // 00000000A05C: 0AA92954
	v_mul_f32_e32 v85, v85, v149                               // 00000000A060: 0AAB2B55
	v_mul_f32_e32 v86, v86, v150                               // 00000000A064: 0AAD2D56
	v_mul_f32_e32 v87, v87, v151                               // 00000000A068: 0AAF2F57
	v_mul_f32_e64 v4, -v88, s6                                 // 00000000A06C: D1050004 20000D58
	v_mul_f32_e64 v5, -v89, s6                                 // 00000000A074: D1050005 20000D59
	v_mul_f32_e64 v6, -v90, s6                                 // 00000000A07C: D1050006 20000D5A
	v_mul_f32_e64 v7, -v91, s6                                 // 00000000A084: D1050007 20000D5B
	v_exp_f32_e32 v4, v4                                       // 00000000A08C: 7E084104
	v_exp_f32_e32 v5, v5                                       // 00000000A090: 7E0A4105
	v_exp_f32_e32 v6, v6                                       // 00000000A094: 7E0C4106
	v_exp_f32_e32 v7, v7                                       // 00000000A098: 7E0E4107
	v_add_f32_e64 v4, v4, 1.0                                  // 00000000A09C: D1010004 0001E504
	v_add_f32_e64 v5, v5, 1.0                                  // 00000000A0A4: D1010005 0001E505
	v_add_f32_e64 v6, v6, 1.0                                  // 00000000A0AC: D1010006 0001E506
	v_add_f32_e64 v7, v7, 1.0                                  // 00000000A0B4: D1010007 0001E507
	v_rcp_f32_e32 v4, v4                                       // 00000000A0BC: 7E084504
	v_rcp_f32_e32 v5, v5                                       // 00000000A0C0: 7E0A4505
	v_rcp_f32_e32 v6, v6                                       // 00000000A0C4: 7E0C4506
	v_rcp_f32_e32 v7, v7                                       // 00000000A0C8: 7E0E4507
	v_mul_f32_e32 v88, v88, v4                                 // 00000000A0CC: 0AB00958
	v_mul_f32_e32 v89, v89, v5                                 // 00000000A0D0: 0AB20B59
	v_mul_f32_e32 v90, v90, v6                                 // 00000000A0D4: 0AB40D5A
	v_mul_f32_e32 v91, v91, v7                                 // 00000000A0D8: 0AB60F5B
	v_mul_f32_e32 v88, v88, v152                               // 00000000A0DC: 0AB13158
	v_mul_f32_e32 v89, v89, v153                               // 00000000A0E0: 0AB33359
	v_mul_f32_e32 v90, v90, v154                               // 00000000A0E4: 0AB5355A
	v_mul_f32_e32 v91, v91, v155                               // 00000000A0E8: 0AB7375B
	v_mul_f32_e64 v4, -v92, s6                                 // 00000000A0EC: D1050004 20000D5C
	v_mul_f32_e64 v5, -v93, s6                                 // 00000000A0F4: D1050005 20000D5D
	v_mul_f32_e64 v6, -v94, s6                                 // 00000000A0FC: D1050006 20000D5E
	v_mul_f32_e64 v7, -v95, s6                                 // 00000000A104: D1050007 20000D5F
	v_exp_f32_e32 v4, v4                                       // 00000000A10C: 7E084104
	v_exp_f32_e32 v5, v5                                       // 00000000A110: 7E0A4105
	v_exp_f32_e32 v6, v6                                       // 00000000A114: 7E0C4106
	v_exp_f32_e32 v7, v7                                       // 00000000A118: 7E0E4107
	v_add_f32_e64 v4, v4, 1.0                                  // 00000000A11C: D1010004 0001E504
	v_add_f32_e64 v5, v5, 1.0                                  // 00000000A124: D1010005 0001E505
	v_add_f32_e64 v6, v6, 1.0                                  // 00000000A12C: D1010006 0001E506
	v_add_f32_e64 v7, v7, 1.0                                  // 00000000A134: D1010007 0001E507
	v_rcp_f32_e32 v4, v4                                       // 00000000A13C: 7E084504
	v_rcp_f32_e32 v5, v5                                       // 00000000A140: 7E0A4505
	v_rcp_f32_e32 v6, v6                                       // 00000000A144: 7E0C4506
	v_rcp_f32_e32 v7, v7                                       // 00000000A148: 7E0E4507
	v_mul_f32_e32 v92, v92, v4                                 // 00000000A14C: 0AB8095C
	v_mul_f32_e32 v93, v93, v5                                 // 00000000A150: 0ABA0B5D
	v_mul_f32_e32 v94, v94, v6                                 // 00000000A154: 0ABC0D5E
	v_mul_f32_e32 v95, v95, v7                                 // 00000000A158: 0ABE0F5F
	v_mul_f32_e32 v92, v92, v156                               // 00000000A15C: 0AB9395C
	v_mul_f32_e32 v93, v93, v157                               // 00000000A160: 0ABB3B5D
	v_mul_f32_e32 v94, v94, v158                               // 00000000A164: 0ABD3D5E
	v_mul_f32_e32 v95, v95, v159                               // 00000000A168: 0ABF3F5F
	v_mul_f32_e64 v4, -v96, s6                                 // 00000000A16C: D1050004 20000D60
	v_mul_f32_e64 v5, -v97, s6                                 // 00000000A174: D1050005 20000D61
	v_mul_f32_e64 v6, -v98, s6                                 // 00000000A17C: D1050006 20000D62
	v_mul_f32_e64 v7, -v99, s6                                 // 00000000A184: D1050007 20000D63
	v_exp_f32_e32 v4, v4                                       // 00000000A18C: 7E084104
	v_exp_f32_e32 v5, v5                                       // 00000000A190: 7E0A4105
	v_exp_f32_e32 v6, v6                                       // 00000000A194: 7E0C4106
	v_exp_f32_e32 v7, v7                                       // 00000000A198: 7E0E4107
	v_add_f32_e64 v4, v4, 1.0                                  // 00000000A19C: D1010004 0001E504
	v_add_f32_e64 v5, v5, 1.0                                  // 00000000A1A4: D1010005 0001E505
	v_add_f32_e64 v6, v6, 1.0                                  // 00000000A1AC: D1010006 0001E506
	v_add_f32_e64 v7, v7, 1.0                                  // 00000000A1B4: D1010007 0001E507
	v_rcp_f32_e32 v4, v4                                       // 00000000A1BC: 7E084504
	v_rcp_f32_e32 v5, v5                                       // 00000000A1C0: 7E0A4505
	v_rcp_f32_e32 v6, v6                                       // 00000000A1C4: 7E0C4506
	v_rcp_f32_e32 v7, v7                                       // 00000000A1C8: 7E0E4507
	v_mul_f32_e32 v96, v96, v4                                 // 00000000A1CC: 0AC00960
	v_mul_f32_e32 v97, v97, v5                                 // 00000000A1D0: 0AC20B61
	v_mul_f32_e32 v98, v98, v6                                 // 00000000A1D4: 0AC40D62
	v_mul_f32_e32 v99, v99, v7                                 // 00000000A1D8: 0AC60F63
	v_mul_f32_e32 v96, v96, v160                               // 00000000A1DC: 0AC14160
	v_mul_f32_e32 v97, v97, v161                               // 00000000A1E0: 0AC34361
	v_mul_f32_e32 v98, v98, v162                               // 00000000A1E4: 0AC54562
	v_mul_f32_e32 v99, v99, v163                               // 00000000A1E8: 0AC74763
	v_mul_f32_e64 v4, -v100, s6                                // 00000000A1EC: D1050004 20000D64
	v_mul_f32_e64 v5, -v101, s6                                // 00000000A1F4: D1050005 20000D65
	v_mul_f32_e64 v6, -v102, s6                                // 00000000A1FC: D1050006 20000D66
	v_mul_f32_e64 v7, -v103, s6                                // 00000000A204: D1050007 20000D67
	v_exp_f32_e32 v4, v4                                       // 00000000A20C: 7E084104
	v_exp_f32_e32 v5, v5                                       // 00000000A210: 7E0A4105
	v_exp_f32_e32 v6, v6                                       // 00000000A214: 7E0C4106
	v_exp_f32_e32 v7, v7                                       // 00000000A218: 7E0E4107
	v_add_f32_e64 v4, v4, 1.0                                  // 00000000A21C: D1010004 0001E504
	v_add_f32_e64 v5, v5, 1.0                                  // 00000000A224: D1010005 0001E505
	v_add_f32_e64 v6, v6, 1.0                                  // 00000000A22C: D1010006 0001E506
	v_add_f32_e64 v7, v7, 1.0                                  // 00000000A234: D1010007 0001E507
	v_rcp_f32_e32 v4, v4                                       // 00000000A23C: 7E084504
	v_rcp_f32_e32 v5, v5                                       // 00000000A240: 7E0A4505
	v_rcp_f32_e32 v6, v6                                       // 00000000A244: 7E0C4506
	v_rcp_f32_e32 v7, v7                                       // 00000000A248: 7E0E4507
	v_mul_f32_e32 v100, v100, v4                               // 00000000A24C: 0AC80964
	v_mul_f32_e32 v101, v101, v5                               // 00000000A250: 0ACA0B65
	v_mul_f32_e32 v102, v102, v6                               // 00000000A254: 0ACC0D66
	v_mul_f32_e32 v103, v103, v7                               // 00000000A258: 0ACE0F67
	v_mul_f32_e32 v100, v100, v164                             // 00000000A25C: 0AC94964
	v_mul_f32_e32 v101, v101, v165                             // 00000000A260: 0ACB4B65
	v_mul_f32_e32 v102, v102, v166                             // 00000000A264: 0ACD4D66
	v_mul_f32_e32 v103, v103, v167                             // 00000000A268: 0ACF4F67
	v_mul_f32_e64 v4, -v104, s6                                // 00000000A26C: D1050004 20000D68
	v_mul_f32_e64 v5, -v105, s6                                // 00000000A274: D1050005 20000D69
	v_mul_f32_e64 v6, -v106, s6                                // 00000000A27C: D1050006 20000D6A
	v_mul_f32_e64 v7, -v107, s6                                // 00000000A284: D1050007 20000D6B
	v_exp_f32_e32 v4, v4                                       // 00000000A28C: 7E084104
	v_exp_f32_e32 v5, v5                                       // 00000000A290: 7E0A4105
	v_exp_f32_e32 v6, v6                                       // 00000000A294: 7E0C4106
	v_exp_f32_e32 v7, v7                                       // 00000000A298: 7E0E4107
	v_add_f32_e64 v4, v4, 1.0                                  // 00000000A29C: D1010004 0001E504
	v_add_f32_e64 v5, v5, 1.0                                  // 00000000A2A4: D1010005 0001E505
	v_add_f32_e64 v6, v6, 1.0                                  // 00000000A2AC: D1010006 0001E506
	v_add_f32_e64 v7, v7, 1.0                                  // 00000000A2B4: D1010007 0001E507
	v_rcp_f32_e32 v4, v4                                       // 00000000A2BC: 7E084504
	v_rcp_f32_e32 v5, v5                                       // 00000000A2C0: 7E0A4505
	v_rcp_f32_e32 v6, v6                                       // 00000000A2C4: 7E0C4506
	v_rcp_f32_e32 v7, v7                                       // 00000000A2C8: 7E0E4507
	v_mul_f32_e32 v104, v104, v4                               // 00000000A2CC: 0AD00968
	v_mul_f32_e32 v105, v105, v5                               // 00000000A2D0: 0AD20B69
	v_mul_f32_e32 v106, v106, v6                               // 00000000A2D4: 0AD40D6A
	v_mul_f32_e32 v107, v107, v7                               // 00000000A2D8: 0AD60F6B
	v_mul_f32_e32 v104, v104, v168                             // 00000000A2DC: 0AD15168
	v_mul_f32_e32 v105, v105, v169                             // 00000000A2E0: 0AD35369
	v_mul_f32_e32 v106, v106, v170                             // 00000000A2E4: 0AD5556A
	v_mul_f32_e32 v107, v107, v171                             // 00000000A2E8: 0AD7576B
	v_mul_f32_e64 v4, -v108, s6                                // 00000000A2EC: D1050004 20000D6C
	v_mul_f32_e64 v5, -v109, s6                                // 00000000A2F4: D1050005 20000D6D
	v_mul_f32_e64 v6, -v110, s6                                // 00000000A2FC: D1050006 20000D6E
	v_mul_f32_e64 v7, -v111, s6                                // 00000000A304: D1050007 20000D6F
	v_exp_f32_e32 v4, v4                                       // 00000000A30C: 7E084104
	v_exp_f32_e32 v5, v5                                       // 00000000A310: 7E0A4105
	v_exp_f32_e32 v6, v6                                       // 00000000A314: 7E0C4106
	v_exp_f32_e32 v7, v7                                       // 00000000A318: 7E0E4107
	v_add_f32_e64 v4, v4, 1.0                                  // 00000000A31C: D1010004 0001E504
	v_add_f32_e64 v5, v5, 1.0                                  // 00000000A324: D1010005 0001E505
	v_add_f32_e64 v6, v6, 1.0                                  // 00000000A32C: D1010006 0001E506
	v_add_f32_e64 v7, v7, 1.0                                  // 00000000A334: D1010007 0001E507
	v_rcp_f32_e32 v4, v4                                       // 00000000A33C: 7E084504
	v_rcp_f32_e32 v5, v5                                       // 00000000A340: 7E0A4505
	v_rcp_f32_e32 v6, v6                                       // 00000000A344: 7E0C4506
	v_rcp_f32_e32 v7, v7                                       // 00000000A348: 7E0E4507
	v_mul_f32_e32 v108, v108, v4                               // 00000000A34C: 0AD8096C
	v_mul_f32_e32 v109, v109, v5                               // 00000000A350: 0ADA0B6D
	v_mul_f32_e32 v110, v110, v6                               // 00000000A354: 0ADC0D6E
	v_mul_f32_e32 v111, v111, v7                               // 00000000A358: 0ADE0F6F
	v_mul_f32_e32 v108, v108, v172                             // 00000000A35C: 0AD9596C
	v_mul_f32_e32 v109, v109, v173                             // 00000000A360: 0ADB5B6D
	v_mul_f32_e32 v110, v110, v174                             // 00000000A364: 0ADD5D6E
	v_mul_f32_e32 v111, v111, v175                             // 00000000A368: 0ADF5F6F

000000000000a36c <label_1E5E>:
	s_cmp_eq_u32 s7, 0                                         // 00000000A36C: BF068007
	s_cbranch_scc0 label_1E68                                  // 00000000A370: BF840008
	v_and_b32_e32 v4, 15, v0                                   // 00000000A374: 2608008F
	v_lshlrev_b32_e32 v4, 2, v4                                // 00000000A378: 24080882
	buffer_load_dword v28, v4, s[12:15], 0 offen               // 00000000A37C: E0501000 80031C04
	v_add_u32_e32 v4, 64, v4                                   // 00000000A384: 680808C0
	buffer_load_dword v29, v4, s[12:15], 0 offen               // 00000000A388: E0501000 80031D04
	v_add_u32_e32 v4, 64, v4                                   // 00000000A390: 680808C0

000000000000a394 <label_1E68>:
	v_lshlrev_b32_e32 v4, 2, v0                                // 00000000A394: 24080082
	s_mul_i32 s60, 0x100, s7                                   // 00000000A398: 923C07FF 00000100
	v_add_u32_e32 v120, s60, v4                                // 00000000A3A0: 68F0083C
	v_and_b32_e32 v4, 15, v0                                   // 00000000A3A4: 2608008F
	v_lshlrev_b32_e32 v121, 2, v4                              // 00000000A3A8: 24F20882
	s_waitcnt lgkmcnt(0)                                       // 00000000A3AC: BF8CC07F
	s_barrier                                                  // 00000000A3B0: BF8A0000
	v_mov_b32_e32 v112, 0x358637bd                             // 00000000A3B4: 7EE002FF 358637BD
	v_max3_f32 v112, |v48|, |v49|, v112                        // 00000000A3BC: D1D30370 05C26330
	v_max3_f32 v112, |v50|, |v51|, v112                        // 00000000A3C4: D1D30370 05C26732
	v_max3_f32 v112, |v56|, |v57|, v112                        // 00000000A3CC: D1D30370 05C27338
	v_max3_f32 v112, |v58|, |v59|, v112                        // 00000000A3D4: D1D30370 05C2773A
	ds_write_b32 v120, v112                                    // 00000000A3DC: D81A0000 00007078
	s_waitcnt lgkmcnt(0)                                       // 00000000A3E4: BF8CC07F
	s_barrier                                                  // 00000000A3E8: BF8A0000
	ds_read_b32 v4, v121                                       // 00000000A3EC: D86C0000 04000079
	ds_read_b32 v5, v121 offset:64                             // 00000000A3F4: D86C0040 05000079
	ds_read_b32 v6, v121 offset:128                            // 00000000A3FC: D86C0080 06000079
	ds_read_b32 v7, v121 offset:192                            // 00000000A404: D86C00C0 07000079
	ds_read_b32 v8, v121 offset:256                            // 00000000A40C: D86C0100 08000079
	ds_read_b32 v9, v121 offset:320                            // 00000000A414: D86C0140 09000079
	ds_read_b32 v10, v121 offset:384                           // 00000000A41C: D86C0180 0A000079
	ds_read_b32 v11, v121 offset:448                           // 00000000A424: D86C01C0 0B000079
	ds_read_b32 v12, v121 offset:512                           // 00000000A42C: D86C0200 0C000079
	ds_read_b32 v13, v121 offset:576                           // 00000000A434: D86C0240 0D000079
	ds_read_b32 v14, v121 offset:640                           // 00000000A43C: D86C0280 0E000079
	ds_read_b32 v15, v121 offset:704                           // 00000000A444: D86C02C0 0F000079
	ds_read_b32 v16, v121 offset:768                           // 00000000A44C: D86C0300 10000079
	ds_read_b32 v17, v121 offset:832                           // 00000000A454: D86C0340 11000079
	ds_read_b32 v18, v121 offset:896                           // 00000000A45C: D86C0380 12000079
	ds_read_b32 v19, v121 offset:960                           // 00000000A464: D86C03C0 13000079
	s_waitcnt lgkmcnt(0)                                       // 00000000A46C: BF8CC07F
	s_barrier                                                  // 00000000A470: BF8A0000
	v_max3_f32 v112, |v4|, |v5|, v112                          // 00000000A474: D1D30370 05C20B04
	v_max3_f32 v112, |v6|, |v7|, v112                          // 00000000A47C: D1D30370 05C20F06
	v_max3_f32 v112, |v8|, |v9|, v112                          // 00000000A484: D1D30370 05C21308
	v_max3_f32 v112, |v10|, |v11|, v112                        // 00000000A48C: D1D30370 05C2170A
	v_max3_f32 v112, |v12|, |v13|, v112                        // 00000000A494: D1D30370 05C21B0C
	v_max3_f32 v112, |v14|, |v15|, v112                        // 00000000A49C: D1D30370 05C21F0E
	v_max3_f32 v112, |v16|, |v17|, v112                        // 00000000A4A4: D1D30370 05C22310
	v_max3_f32 v112, |v18|, |v19|, v112                        // 00000000A4AC: D1D30370 05C22712
	v_rcp_f32_e32 v112, v112                                   // 00000000A4B4: 7EE04570
	v_mov_b32_e32 v4, 0x43700000                               // 00000000A4B8: 7E0802FF 43700000
	v_mul_f32_e32 v112, v4, v112                               // 00000000A4C0: 0AE0E104
	v_mov_b32_e32 v4, v112                                     // 00000000A4C4: 7E080370
	v_mov_b32_e32 v5, v4                                       // 00000000A4C8: 7E0A0304
	v_pk_mul_f32 v[48:49], v[4:5], v[48:49]                    // 00000000A4CC: D3B14030 18026104
	v_pk_mul_f32 v[50:51], v[4:5], v[50:51]                    // 00000000A4D4: D3B14032 18026504
	v_cvt_pk_fp8_f32 v48, v48, v49                             // 00000000A4DC: D2A20030 00026330
	v_cvt_pk_fp8_f32 v48, v50, v51 op_sel:[0,0,1]              // 00000000A4E4: D2A24030 00026732
	v_pk_mul_f32 v[56:57], v[4:5], v[56:57]                    // 00000000A4EC: D3B14038 18027104
	v_pk_mul_f32 v[58:59], v[4:5], v[58:59]                    // 00000000A4F4: D3B1403A 18027504
	v_cvt_pk_fp8_f32 v56, v56, v57                             // 00000000A4FC: D2A20038 00027338
	v_cvt_pk_fp8_f32 v56, v58, v59 op_sel:[0,0,1]              // 00000000A504: D2A24038 0002773A
	v_rcp_f32_e32 v112, v112                                   // 00000000A50C: 7EE04570
	v_mov_b32_e32 v114, 0x358637bd                             // 00000000A510: 7EE402FF 358637BD
	v_max3_f32 v114, |v64|, |v65|, v114                        // 00000000A518: D1D30372 05CA8340
	v_max3_f32 v114, |v66|, |v67|, v114                        // 00000000A520: D1D30372 05CA8742
	v_max3_f32 v114, |v72|, |v73|, v114                        // 00000000A528: D1D30372 05CA9348
	v_max3_f32 v114, |v74|, |v75|, v114                        // 00000000A530: D1D30372 05CA974A
	ds_write_b32 v120, v114                                    // 00000000A538: D81A0000 00007278
	s_waitcnt lgkmcnt(0)                                       // 00000000A540: BF8CC07F
	s_barrier                                                  // 00000000A544: BF8A0000
	ds_read_b32 v4, v121                                       // 00000000A548: D86C0000 04000079
	ds_read_b32 v5, v121 offset:64                             // 00000000A550: D86C0040 05000079
	ds_read_b32 v6, v121 offset:128                            // 00000000A558: D86C0080 06000079
	ds_read_b32 v7, v121 offset:192                            // 00000000A560: D86C00C0 07000079
	ds_read_b32 v8, v121 offset:256                            // 00000000A568: D86C0100 08000079
	ds_read_b32 v9, v121 offset:320                            // 00000000A570: D86C0140 09000079
	ds_read_b32 v10, v121 offset:384                           // 00000000A578: D86C0180 0A000079
	ds_read_b32 v11, v121 offset:448                           // 00000000A580: D86C01C0 0B000079
	ds_read_b32 v12, v121 offset:512                           // 00000000A588: D86C0200 0C000079
	ds_read_b32 v13, v121 offset:576                           // 00000000A590: D86C0240 0D000079
	ds_read_b32 v14, v121 offset:640                           // 00000000A598: D86C0280 0E000079
	ds_read_b32 v15, v121 offset:704                           // 00000000A5A0: D86C02C0 0F000079
	ds_read_b32 v16, v121 offset:768                           // 00000000A5A8: D86C0300 10000079
	ds_read_b32 v17, v121 offset:832                           // 00000000A5B0: D86C0340 11000079
	ds_read_b32 v18, v121 offset:896                           // 00000000A5B8: D86C0380 12000079
	ds_read_b32 v19, v121 offset:960                           // 00000000A5C0: D86C03C0 13000079
	s_waitcnt lgkmcnt(0)                                       // 00000000A5C8: BF8CC07F
	s_barrier                                                  // 00000000A5CC: BF8A0000
	v_max3_f32 v114, |v4|, |v5|, v114                          // 00000000A5D0: D1D30372 05CA0B04
	v_max3_f32 v114, |v6|, |v7|, v114                          // 00000000A5D8: D1D30372 05CA0F06
	v_max3_f32 v114, |v8|, |v9|, v114                          // 00000000A5E0: D1D30372 05CA1308
	v_max3_f32 v114, |v10|, |v11|, v114                        // 00000000A5E8: D1D30372 05CA170A
	v_max3_f32 v114, |v12|, |v13|, v114                        // 00000000A5F0: D1D30372 05CA1B0C
	v_max3_f32 v114, |v14|, |v15|, v114                        // 00000000A5F8: D1D30372 05CA1F0E
	v_max3_f32 v114, |v16|, |v17|, v114                        // 00000000A600: D1D30372 05CA2310
	v_max3_f32 v114, |v18|, |v19|, v114                        // 00000000A608: D1D30372 05CA2712
	v_rcp_f32_e32 v114, v114                                   // 00000000A610: 7EE44572
	v_mov_b32_e32 v4, 0x43700000                               // 00000000A614: 7E0802FF 43700000
	v_mul_f32_e32 v114, v4, v114                               // 00000000A61C: 0AE4E504
	v_mov_b32_e32 v4, v114                                     // 00000000A620: 7E080372
	v_mov_b32_e32 v5, v4                                       // 00000000A624: 7E0A0304
	v_pk_mul_f32 v[64:65], v[4:5], v[64:65]                    // 00000000A628: D3B14040 18028104
	v_pk_mul_f32 v[66:67], v[4:5], v[66:67]                    // 00000000A630: D3B14042 18028504
	v_cvt_pk_fp8_f32 v64, v64, v65                             // 00000000A638: D2A20040 00028340
	v_cvt_pk_fp8_f32 v64, v66, v67 op_sel:[0,0,1]              // 00000000A640: D2A24040 00028742
	v_pk_mul_f32 v[72:73], v[4:5], v[72:73]                    // 00000000A648: D3B14048 18029104
	v_pk_mul_f32 v[74:75], v[4:5], v[74:75]                    // 00000000A650: D3B1404A 18029504
	v_cvt_pk_fp8_f32 v72, v72, v73                             // 00000000A658: D2A20048 00029348
	v_cvt_pk_fp8_f32 v72, v74, v75 op_sel:[0,0,1]              // 00000000A660: D2A24048 0002974A
	v_rcp_f32_e32 v114, v114                                   // 00000000A668: 7EE44572
	v_mov_b32_e32 v116, 0x358637bd                             // 00000000A66C: 7EE802FF 358637BD
	v_max3_f32 v116, |v80|, |v81|, v116                        // 00000000A674: D1D30374 05D2A350
	v_max3_f32 v116, |v82|, |v83|, v116                        // 00000000A67C: D1D30374 05D2A752
	v_max3_f32 v116, |v88|, |v89|, v116                        // 00000000A684: D1D30374 05D2B358
	v_max3_f32 v116, |v90|, |v91|, v116                        // 00000000A68C: D1D30374 05D2B75A
	ds_write_b32 v120, v116                                    // 00000000A694: D81A0000 00007478
	s_waitcnt lgkmcnt(0)                                       // 00000000A69C: BF8CC07F
	s_barrier                                                  // 00000000A6A0: BF8A0000
	ds_read_b32 v4, v121                                       // 00000000A6A4: D86C0000 04000079
	ds_read_b32 v5, v121 offset:64                             // 00000000A6AC: D86C0040 05000079
	ds_read_b32 v6, v121 offset:128                            // 00000000A6B4: D86C0080 06000079
	ds_read_b32 v7, v121 offset:192                            // 00000000A6BC: D86C00C0 07000079
	ds_read_b32 v8, v121 offset:256                            // 00000000A6C4: D86C0100 08000079
	ds_read_b32 v9, v121 offset:320                            // 00000000A6CC: D86C0140 09000079
	ds_read_b32 v10, v121 offset:384                           // 00000000A6D4: D86C0180 0A000079
	ds_read_b32 v11, v121 offset:448                           // 00000000A6DC: D86C01C0 0B000079
	ds_read_b32 v12, v121 offset:512                           // 00000000A6E4: D86C0200 0C000079
	ds_read_b32 v13, v121 offset:576                           // 00000000A6EC: D86C0240 0D000079
	ds_read_b32 v14, v121 offset:640                           // 00000000A6F4: D86C0280 0E000079
	ds_read_b32 v15, v121 offset:704                           // 00000000A6FC: D86C02C0 0F000079
	ds_read_b32 v16, v121 offset:768                           // 00000000A704: D86C0300 10000079
	ds_read_b32 v17, v121 offset:832                           // 00000000A70C: D86C0340 11000079
	ds_read_b32 v18, v121 offset:896                           // 00000000A714: D86C0380 12000079
	ds_read_b32 v19, v121 offset:960                           // 00000000A71C: D86C03C0 13000079
	s_waitcnt lgkmcnt(0)                                       // 00000000A724: BF8CC07F
	s_barrier                                                  // 00000000A728: BF8A0000
	v_max3_f32 v116, |v4|, |v5|, v116                          // 00000000A72C: D1D30374 05D20B04
	v_max3_f32 v116, |v6|, |v7|, v116                          // 00000000A734: D1D30374 05D20F06
	v_max3_f32 v116, |v8|, |v9|, v116                          // 00000000A73C: D1D30374 05D21308
	v_max3_f32 v116, |v10|, |v11|, v116                        // 00000000A744: D1D30374 05D2170A
	v_max3_f32 v116, |v12|, |v13|, v116                        // 00000000A74C: D1D30374 05D21B0C
	v_max3_f32 v116, |v14|, |v15|, v116                        // 00000000A754: D1D30374 05D21F0E
	v_max3_f32 v116, |v16|, |v17|, v116                        // 00000000A75C: D1D30374 05D22310
	v_max3_f32 v116, |v18|, |v19|, v116                        // 00000000A764: D1D30374 05D22712
	v_rcp_f32_e32 v116, v116                                   // 00000000A76C: 7EE84574
	v_mov_b32_e32 v4, 0x43700000                               // 00000000A770: 7E0802FF 43700000
	v_mul_f32_e32 v116, v4, v116                               // 00000000A778: 0AE8E904
	v_mov_b32_e32 v4, v116                                     // 00000000A77C: 7E080374
	v_mov_b32_e32 v5, v4                                       // 00000000A780: 7E0A0304
	v_pk_mul_f32 v[80:81], v[4:5], v[80:81]                    // 00000000A784: D3B14050 1802A104
	v_pk_mul_f32 v[82:83], v[4:5], v[82:83]                    // 00000000A78C: D3B14052 1802A504
	v_cvt_pk_fp8_f32 v80, v80, v81                             // 00000000A794: D2A20050 0002A350
	v_cvt_pk_fp8_f32 v80, v82, v83 op_sel:[0,0,1]              // 00000000A79C: D2A24050 0002A752
	v_pk_mul_f32 v[88:89], v[4:5], v[88:89]                    // 00000000A7A4: D3B14058 1802B104
	v_pk_mul_f32 v[90:91], v[4:5], v[90:91]                    // 00000000A7AC: D3B1405A 1802B504
	v_cvt_pk_fp8_f32 v88, v88, v89                             // 00000000A7B4: D2A20058 0002B358
	v_cvt_pk_fp8_f32 v88, v90, v91 op_sel:[0,0,1]              // 00000000A7BC: D2A24058 0002B75A
	v_rcp_f32_e32 v116, v116                                   // 00000000A7C4: 7EE84574
	v_mov_b32_e32 v118, 0x358637bd                             // 00000000A7C8: 7EEC02FF 358637BD
	v_max3_f32 v118, |v96|, |v97|, v118                        // 00000000A7D0: D1D30376 05DAC360
	v_max3_f32 v118, |v98|, |v99|, v118                        // 00000000A7D8: D1D30376 05DAC762
	v_max3_f32 v118, |v104|, |v105|, v118                      // 00000000A7E0: D1D30376 05DAD368
	v_max3_f32 v118, |v106|, |v107|, v118                      // 00000000A7E8: D1D30376 05DAD76A
	ds_write_b32 v120, v118                                    // 00000000A7F0: D81A0000 00007678
	s_waitcnt lgkmcnt(0)                                       // 00000000A7F8: BF8CC07F
	s_barrier                                                  // 00000000A7FC: BF8A0000
	ds_read_b32 v4, v121                                       // 00000000A800: D86C0000 04000079
	ds_read_b32 v5, v121 offset:64                             // 00000000A808: D86C0040 05000079
	ds_read_b32 v6, v121 offset:128                            // 00000000A810: D86C0080 06000079
	ds_read_b32 v7, v121 offset:192                            // 00000000A818: D86C00C0 07000079
	ds_read_b32 v8, v121 offset:256                            // 00000000A820: D86C0100 08000079
	ds_read_b32 v9, v121 offset:320                            // 00000000A828: D86C0140 09000079
	ds_read_b32 v10, v121 offset:384                           // 00000000A830: D86C0180 0A000079
	ds_read_b32 v11, v121 offset:448                           // 00000000A838: D86C01C0 0B000079
	ds_read_b32 v12, v121 offset:512                           // 00000000A840: D86C0200 0C000079
	ds_read_b32 v13, v121 offset:576                           // 00000000A848: D86C0240 0D000079
	ds_read_b32 v14, v121 offset:640                           // 00000000A850: D86C0280 0E000079
	ds_read_b32 v15, v121 offset:704                           // 00000000A858: D86C02C0 0F000079
	ds_read_b32 v16, v121 offset:768                           // 00000000A860: D86C0300 10000079
	ds_read_b32 v17, v121 offset:832                           // 00000000A868: D86C0340 11000079
	ds_read_b32 v18, v121 offset:896                           // 00000000A870: D86C0380 12000079
	ds_read_b32 v19, v121 offset:960                           // 00000000A878: D86C03C0 13000079
	s_waitcnt lgkmcnt(0)                                       // 00000000A880: BF8CC07F
	s_barrier                                                  // 00000000A884: BF8A0000
	v_max3_f32 v118, |v4|, |v5|, v118                          // 00000000A888: D1D30376 05DA0B04
	v_max3_f32 v118, |v6|, |v7|, v118                          // 00000000A890: D1D30376 05DA0F06
	v_max3_f32 v118, |v8|, |v9|, v118                          // 00000000A898: D1D30376 05DA1308
	v_max3_f32 v118, |v10|, |v11|, v118                        // 00000000A8A0: D1D30376 05DA170A
	v_max3_f32 v118, |v12|, |v13|, v118                        // 00000000A8A8: D1D30376 05DA1B0C
	v_max3_f32 v118, |v14|, |v15|, v118                        // 00000000A8B0: D1D30376 05DA1F0E
	v_max3_f32 v118, |v16|, |v17|, v118                        // 00000000A8B8: D1D30376 05DA2310
	v_max3_f32 v118, |v18|, |v19|, v118                        // 00000000A8C0: D1D30376 05DA2712
	v_rcp_f32_e32 v118, v118                                   // 00000000A8C8: 7EEC4576
	v_mov_b32_e32 v4, 0x43700000                               // 00000000A8CC: 7E0802FF 43700000
	v_mul_f32_e32 v118, v4, v118                               // 00000000A8D4: 0AECED04
	v_mov_b32_e32 v4, v118                                     // 00000000A8D8: 7E080376
	v_mov_b32_e32 v5, v4                                       // 00000000A8DC: 7E0A0304
	v_pk_mul_f32 v[96:97], v[4:5], v[96:97]                    // 00000000A8E0: D3B14060 1802C104
	v_pk_mul_f32 v[98:99], v[4:5], v[98:99]                    // 00000000A8E8: D3B14062 1802C504
	v_cvt_pk_fp8_f32 v96, v96, v97                             // 00000000A8F0: D2A20060 0002C360
	v_cvt_pk_fp8_f32 v96, v98, v99 op_sel:[0,0,1]              // 00000000A8F8: D2A24060 0002C762
	v_pk_mul_f32 v[104:105], v[4:5], v[104:105]                // 00000000A900: D3B14068 1802D104
	v_pk_mul_f32 v[106:107], v[4:5], v[106:107]                // 00000000A908: D3B1406A 1802D504
	v_cvt_pk_fp8_f32 v104, v104, v105                          // 00000000A910: D2A20068 0002D368
	v_cvt_pk_fp8_f32 v104, v106, v107 op_sel:[0,0,1]           // 00000000A918: D2A24068 0002D76A
	v_rcp_f32_e32 v118, v118                                   // 00000000A920: 7EEC4576
	v_mov_b32_e32 v113, 0x358637bd                             // 00000000A924: 7EE202FF 358637BD
	v_max3_f32 v113, |v52|, |v53|, v113                        // 00000000A92C: D1D30371 05C66B34
	v_max3_f32 v113, |v54|, |v55|, v113                        // 00000000A934: D1D30371 05C66F36
	v_max3_f32 v113, |v60|, |v61|, v113                        // 00000000A93C: D1D30371 05C67B3C
	v_max3_f32 v113, |v62|, |v63|, v113                        // 00000000A944: D1D30371 05C67F3E
	ds_write_b32 v120, v113                                    // 00000000A94C: D81A0000 00007178
	s_waitcnt lgkmcnt(0)                                       // 00000000A954: BF8CC07F
	s_barrier                                                  // 00000000A958: BF8A0000
	ds_read_b32 v4, v121                                       // 00000000A95C: D86C0000 04000079
	ds_read_b32 v5, v121 offset:64                             // 00000000A964: D86C0040 05000079
	ds_read_b32 v6, v121 offset:128                            // 00000000A96C: D86C0080 06000079
	ds_read_b32 v7, v121 offset:192                            // 00000000A974: D86C00C0 07000079
	ds_read_b32 v8, v121 offset:256                            // 00000000A97C: D86C0100 08000079
	ds_read_b32 v9, v121 offset:320                            // 00000000A984: D86C0140 09000079
	ds_read_b32 v10, v121 offset:384                           // 00000000A98C: D86C0180 0A000079
	ds_read_b32 v11, v121 offset:448                           // 00000000A994: D86C01C0 0B000079
	ds_read_b32 v12, v121 offset:512                           // 00000000A99C: D86C0200 0C000079
	ds_read_b32 v13, v121 offset:576                           // 00000000A9A4: D86C0240 0D000079
	ds_read_b32 v14, v121 offset:640                           // 00000000A9AC: D86C0280 0E000079
	ds_read_b32 v15, v121 offset:704                           // 00000000A9B4: D86C02C0 0F000079
	ds_read_b32 v16, v121 offset:768                           // 00000000A9BC: D86C0300 10000079
	ds_read_b32 v17, v121 offset:832                           // 00000000A9C4: D86C0340 11000079
	ds_read_b32 v18, v121 offset:896                           // 00000000A9CC: D86C0380 12000079
	ds_read_b32 v19, v121 offset:960                           // 00000000A9D4: D86C03C0 13000079
	s_waitcnt lgkmcnt(0)                                       // 00000000A9DC: BF8CC07F
	s_barrier                                                  // 00000000A9E0: BF8A0000
	v_max3_f32 v113, |v4|, |v5|, v113                          // 00000000A9E4: D1D30371 05C60B04
	v_max3_f32 v113, |v6|, |v7|, v113                          // 00000000A9EC: D1D30371 05C60F06
	v_max3_f32 v113, |v8|, |v9|, v113                          // 00000000A9F4: D1D30371 05C61308
	v_max3_f32 v113, |v10|, |v11|, v113                        // 00000000A9FC: D1D30371 05C6170A
	v_max3_f32 v113, |v12|, |v13|, v113                        // 00000000AA04: D1D30371 05C61B0C
	v_max3_f32 v113, |v14|, |v15|, v113                        // 00000000AA0C: D1D30371 05C61F0E
	v_max3_f32 v113, |v16|, |v17|, v113                        // 00000000AA14: D1D30371 05C62310
	v_max3_f32 v113, |v18|, |v19|, v113                        // 00000000AA1C: D1D30371 05C62712
	v_rcp_f32_e32 v113, v113                                   // 00000000AA24: 7EE24571
	v_mov_b32_e32 v4, 0x43700000                               // 00000000AA28: 7E0802FF 43700000
	v_mul_f32_e32 v113, v4, v113                               // 00000000AA30: 0AE2E304
	v_mov_b32_e32 v4, v113                                     // 00000000AA34: 7E080371
	v_mov_b32_e32 v5, v4                                       // 00000000AA38: 7E0A0304
	v_pk_mul_f32 v[52:53], v[4:5], v[52:53]                    // 00000000AA3C: D3B14034 18026904
	v_pk_mul_f32 v[54:55], v[4:5], v[54:55]                    // 00000000AA44: D3B14036 18026D04
	v_cvt_pk_fp8_f32 v52, v52, v53                             // 00000000AA4C: D2A20034 00026B34
	v_cvt_pk_fp8_f32 v52, v54, v55 op_sel:[0,0,1]              // 00000000AA54: D2A24034 00026F36
	v_pk_mul_f32 v[60:61], v[4:5], v[60:61]                    // 00000000AA5C: D3B1403C 18027904
	v_pk_mul_f32 v[62:63], v[4:5], v[62:63]                    // 00000000AA64: D3B1403E 18027D04
	v_cvt_pk_fp8_f32 v60, v60, v61                             // 00000000AA6C: D2A2003C 00027B3C
	v_cvt_pk_fp8_f32 v60, v62, v63 op_sel:[0,0,1]              // 00000000AA74: D2A2403C 00027F3E
	v_rcp_f32_e32 v113, v113                                   // 00000000AA7C: 7EE24571
	v_mov_b32_e32 v115, 0x358637bd                             // 00000000AA80: 7EE602FF 358637BD
	v_max3_f32 v115, |v68|, |v69|, v115                        // 00000000AA88: D1D30373 05CE8B44
	v_max3_f32 v115, |v70|, |v71|, v115                        // 00000000AA90: D1D30373 05CE8F46
	v_max3_f32 v115, |v76|, |v77|, v115                        // 00000000AA98: D1D30373 05CE9B4C
	v_max3_f32 v115, |v78|, |v79|, v115                        // 00000000AAA0: D1D30373 05CE9F4E
	ds_write_b32 v120, v115                                    // 00000000AAA8: D81A0000 00007378
	s_waitcnt lgkmcnt(0)                                       // 00000000AAB0: BF8CC07F
	s_barrier                                                  // 00000000AAB4: BF8A0000
	ds_read_b32 v4, v121                                       // 00000000AAB8: D86C0000 04000079
	ds_read_b32 v5, v121 offset:64                             // 00000000AAC0: D86C0040 05000079
	ds_read_b32 v6, v121 offset:128                            // 00000000AAC8: D86C0080 06000079
	ds_read_b32 v7, v121 offset:192                            // 00000000AAD0: D86C00C0 07000079
	ds_read_b32 v8, v121 offset:256                            // 00000000AAD8: D86C0100 08000079
	ds_read_b32 v9, v121 offset:320                            // 00000000AAE0: D86C0140 09000079
	ds_read_b32 v10, v121 offset:384                           // 00000000AAE8: D86C0180 0A000079
	ds_read_b32 v11, v121 offset:448                           // 00000000AAF0: D86C01C0 0B000079
	ds_read_b32 v12, v121 offset:512                           // 00000000AAF8: D86C0200 0C000079
	ds_read_b32 v13, v121 offset:576                           // 00000000AB00: D86C0240 0D000079
	ds_read_b32 v14, v121 offset:640                           // 00000000AB08: D86C0280 0E000079
	ds_read_b32 v15, v121 offset:704                           // 00000000AB10: D86C02C0 0F000079
	ds_read_b32 v16, v121 offset:768                           // 00000000AB18: D86C0300 10000079
	ds_read_b32 v17, v121 offset:832                           // 00000000AB20: D86C0340 11000079
	ds_read_b32 v18, v121 offset:896                           // 00000000AB28: D86C0380 12000079
	ds_read_b32 v19, v121 offset:960                           // 00000000AB30: D86C03C0 13000079
	s_waitcnt lgkmcnt(0)                                       // 00000000AB38: BF8CC07F
	s_barrier                                                  // 00000000AB3C: BF8A0000
	v_max3_f32 v115, |v4|, |v5|, v115                          // 00000000AB40: D1D30373 05CE0B04
	v_max3_f32 v115, |v6|, |v7|, v115                          // 00000000AB48: D1D30373 05CE0F06
	v_max3_f32 v115, |v8|, |v9|, v115                          // 00000000AB50: D1D30373 05CE1308
	v_max3_f32 v115, |v10|, |v11|, v115                        // 00000000AB58: D1D30373 05CE170A
	v_max3_f32 v115, |v12|, |v13|, v115                        // 00000000AB60: D1D30373 05CE1B0C
	v_max3_f32 v115, |v14|, |v15|, v115                        // 00000000AB68: D1D30373 05CE1F0E
	v_max3_f32 v115, |v16|, |v17|, v115                        // 00000000AB70: D1D30373 05CE2310
	v_max3_f32 v115, |v18|, |v19|, v115                        // 00000000AB78: D1D30373 05CE2712
	v_rcp_f32_e32 v115, v115                                   // 00000000AB80: 7EE64573
	v_mov_b32_e32 v4, 0x43700000                               // 00000000AB84: 7E0802FF 43700000
	v_mul_f32_e32 v115, v4, v115                               // 00000000AB8C: 0AE6E704
	v_mov_b32_e32 v4, v115                                     // 00000000AB90: 7E080373
	v_mov_b32_e32 v5, v4                                       // 00000000AB94: 7E0A0304
	v_pk_mul_f32 v[68:69], v[4:5], v[68:69]                    // 00000000AB98: D3B14044 18028904
	v_pk_mul_f32 v[70:71], v[4:5], v[70:71]                    // 00000000ABA0: D3B14046 18028D04
	v_cvt_pk_fp8_f32 v68, v68, v69                             // 00000000ABA8: D2A20044 00028B44
	v_cvt_pk_fp8_f32 v68, v70, v71 op_sel:[0,0,1]              // 00000000ABB0: D2A24044 00028F46
	v_pk_mul_f32 v[76:77], v[4:5], v[76:77]                    // 00000000ABB8: D3B1404C 18029904
	v_pk_mul_f32 v[78:79], v[4:5], v[78:79]                    // 00000000ABC0: D3B1404E 18029D04
	v_cvt_pk_fp8_f32 v76, v76, v77                             // 00000000ABC8: D2A2004C 00029B4C
	v_cvt_pk_fp8_f32 v76, v78, v79 op_sel:[0,0,1]              // 00000000ABD0: D2A2404C 00029F4E
	v_rcp_f32_e32 v115, v115                                   // 00000000ABD8: 7EE64573
	v_mov_b32_e32 v117, 0x358637bd                             // 00000000ABDC: 7EEA02FF 358637BD
	v_max3_f32 v117, |v84|, |v85|, v117                        // 00000000ABE4: D1D30375 05D6AB54
	v_max3_f32 v117, |v86|, |v87|, v117                        // 00000000ABEC: D1D30375 05D6AF56
	v_max3_f32 v117, |v92|, |v93|, v117                        // 00000000ABF4: D1D30375 05D6BB5C
	v_max3_f32 v117, |v94|, |v95|, v117                        // 00000000ABFC: D1D30375 05D6BF5E
	ds_write_b32 v120, v117                                    // 00000000AC04: D81A0000 00007578
	s_waitcnt lgkmcnt(0)                                       // 00000000AC0C: BF8CC07F
	s_barrier                                                  // 00000000AC10: BF8A0000
	ds_read_b32 v4, v121                                       // 00000000AC14: D86C0000 04000079
	ds_read_b32 v5, v121 offset:64                             // 00000000AC1C: D86C0040 05000079
	ds_read_b32 v6, v121 offset:128                            // 00000000AC24: D86C0080 06000079
	ds_read_b32 v7, v121 offset:192                            // 00000000AC2C: D86C00C0 07000079
	ds_read_b32 v8, v121 offset:256                            // 00000000AC34: D86C0100 08000079
	ds_read_b32 v9, v121 offset:320                            // 00000000AC3C: D86C0140 09000079
	ds_read_b32 v10, v121 offset:384                           // 00000000AC44: D86C0180 0A000079
	ds_read_b32 v11, v121 offset:448                           // 00000000AC4C: D86C01C0 0B000079
	ds_read_b32 v12, v121 offset:512                           // 00000000AC54: D86C0200 0C000079
	ds_read_b32 v13, v121 offset:576                           // 00000000AC5C: D86C0240 0D000079
	ds_read_b32 v14, v121 offset:640                           // 00000000AC64: D86C0280 0E000079
	ds_read_b32 v15, v121 offset:704                           // 00000000AC6C: D86C02C0 0F000079
	ds_read_b32 v16, v121 offset:768                           // 00000000AC74: D86C0300 10000079
	ds_read_b32 v17, v121 offset:832                           // 00000000AC7C: D86C0340 11000079
	ds_read_b32 v18, v121 offset:896                           // 00000000AC84: D86C0380 12000079
	ds_read_b32 v19, v121 offset:960                           // 00000000AC8C: D86C03C0 13000079
	s_waitcnt lgkmcnt(0)                                       // 00000000AC94: BF8CC07F
	s_barrier                                                  // 00000000AC98: BF8A0000
	v_max3_f32 v117, |v4|, |v5|, v117                          // 00000000AC9C: D1D30375 05D60B04
	v_max3_f32 v117, |v6|, |v7|, v117                          // 00000000ACA4: D1D30375 05D60F06
	v_max3_f32 v117, |v8|, |v9|, v117                          // 00000000ACAC: D1D30375 05D61308
	v_max3_f32 v117, |v10|, |v11|, v117                        // 00000000ACB4: D1D30375 05D6170A
	v_max3_f32 v117, |v12|, |v13|, v117                        // 00000000ACBC: D1D30375 05D61B0C
	v_max3_f32 v117, |v14|, |v15|, v117                        // 00000000ACC4: D1D30375 05D61F0E
	v_max3_f32 v117, |v16|, |v17|, v117                        // 00000000ACCC: D1D30375 05D62310
	v_max3_f32 v117, |v18|, |v19|, v117                        // 00000000ACD4: D1D30375 05D62712
	v_rcp_f32_e32 v117, v117                                   // 00000000ACDC: 7EEA4575
	v_mov_b32_e32 v4, 0x43700000                               // 00000000ACE0: 7E0802FF 43700000
	v_mul_f32_e32 v117, v4, v117                               // 00000000ACE8: 0AEAEB04
	v_mov_b32_e32 v4, v117                                     // 00000000ACEC: 7E080375
	v_mov_b32_e32 v5, v4                                       // 00000000ACF0: 7E0A0304
	v_pk_mul_f32 v[84:85], v[4:5], v[84:85]                    // 00000000ACF4: D3B14054 1802A904
	v_pk_mul_f32 v[86:87], v[4:5], v[86:87]                    // 00000000ACFC: D3B14056 1802AD04
	v_cvt_pk_fp8_f32 v84, v84, v85                             // 00000000AD04: D2A20054 0002AB54
	v_cvt_pk_fp8_f32 v84, v86, v87 op_sel:[0,0,1]              // 00000000AD0C: D2A24054 0002AF56
	v_pk_mul_f32 v[92:93], v[4:5], v[92:93]                    // 00000000AD14: D3B1405C 1802B904
	v_pk_mul_f32 v[94:95], v[4:5], v[94:95]                    // 00000000AD1C: D3B1405E 1802BD04
	v_cvt_pk_fp8_f32 v92, v92, v93                             // 00000000AD24: D2A2005C 0002BB5C
	v_cvt_pk_fp8_f32 v92, v94, v95 op_sel:[0,0,1]              // 00000000AD2C: D2A2405C 0002BF5E
	v_rcp_f32_e32 v117, v117                                   // 00000000AD34: 7EEA4575
	v_mov_b32_e32 v119, 0x358637bd                             // 00000000AD38: 7EEE02FF 358637BD
	v_max3_f32 v119, |v100|, |v101|, v119                      // 00000000AD40: D1D30377 05DECB64
	v_max3_f32 v119, |v102|, |v103|, v119                      // 00000000AD48: D1D30377 05DECF66
	v_max3_f32 v119, |v108|, |v109|, v119                      // 00000000AD50: D1D30377 05DEDB6C
	v_max3_f32 v119, |v110|, |v111|, v119                      // 00000000AD58: D1D30377 05DEDF6E
	ds_write_b32 v120, v119                                    // 00000000AD60: D81A0000 00007778
	s_waitcnt lgkmcnt(0)                                       // 00000000AD68: BF8CC07F
	s_barrier                                                  // 00000000AD6C: BF8A0000
	ds_read_b32 v4, v121                                       // 00000000AD70: D86C0000 04000079
	ds_read_b32 v5, v121 offset:64                             // 00000000AD78: D86C0040 05000079
	ds_read_b32 v6, v121 offset:128                            // 00000000AD80: D86C0080 06000079
	ds_read_b32 v7, v121 offset:192                            // 00000000AD88: D86C00C0 07000079
	ds_read_b32 v8, v121 offset:256                            // 00000000AD90: D86C0100 08000079
	ds_read_b32 v9, v121 offset:320                            // 00000000AD98: D86C0140 09000079
	ds_read_b32 v10, v121 offset:384                           // 00000000ADA0: D86C0180 0A000079
	ds_read_b32 v11, v121 offset:448                           // 00000000ADA8: D86C01C0 0B000079
	ds_read_b32 v12, v121 offset:512                           // 00000000ADB0: D86C0200 0C000079
	ds_read_b32 v13, v121 offset:576                           // 00000000ADB8: D86C0240 0D000079
	ds_read_b32 v14, v121 offset:640                           // 00000000ADC0: D86C0280 0E000079
	ds_read_b32 v15, v121 offset:704                           // 00000000ADC8: D86C02C0 0F000079
	ds_read_b32 v16, v121 offset:768                           // 00000000ADD0: D86C0300 10000079
	ds_read_b32 v17, v121 offset:832                           // 00000000ADD8: D86C0340 11000079
	ds_read_b32 v18, v121 offset:896                           // 00000000ADE0: D86C0380 12000079
	ds_read_b32 v19, v121 offset:960                           // 00000000ADE8: D86C03C0 13000079
	s_waitcnt lgkmcnt(0)                                       // 00000000ADF0: BF8CC07F
	s_barrier                                                  // 00000000ADF4: BF8A0000
	v_max3_f32 v119, |v4|, |v5|, v119                          // 00000000ADF8: D1D30377 05DE0B04
	v_max3_f32 v119, |v6|, |v7|, v119                          // 00000000AE00: D1D30377 05DE0F06
	v_max3_f32 v119, |v8|, |v9|, v119                          // 00000000AE08: D1D30377 05DE1308
	v_max3_f32 v119, |v10|, |v11|, v119                        // 00000000AE10: D1D30377 05DE170A
	v_max3_f32 v119, |v12|, |v13|, v119                        // 00000000AE18: D1D30377 05DE1B0C
	v_max3_f32 v119, |v14|, |v15|, v119                        // 00000000AE20: D1D30377 05DE1F0E
	v_max3_f32 v119, |v16|, |v17|, v119                        // 00000000AE28: D1D30377 05DE2310
	v_max3_f32 v119, |v18|, |v19|, v119                        // 00000000AE30: D1D30377 05DE2712
	v_rcp_f32_e32 v119, v119                                   // 00000000AE38: 7EEE4577
	v_mov_b32_e32 v4, 0x43700000                               // 00000000AE3C: 7E0802FF 43700000
	v_mul_f32_e32 v119, v4, v119                               // 00000000AE44: 0AEEEF04
	v_mov_b32_e32 v4, v119                                     // 00000000AE48: 7E080377
	v_mov_b32_e32 v5, v4                                       // 00000000AE4C: 7E0A0304
	v_pk_mul_f32 v[100:101], v[4:5], v[100:101]                // 00000000AE50: D3B14064 1802C904
	v_pk_mul_f32 v[102:103], v[4:5], v[102:103]                // 00000000AE58: D3B14066 1802CD04
	v_cvt_pk_fp8_f32 v100, v100, v101                          // 00000000AE60: D2A20064 0002CB64
	v_cvt_pk_fp8_f32 v100, v102, v103 op_sel:[0,0,1]           // 00000000AE68: D2A24064 0002CF66
	v_pk_mul_f32 v[108:109], v[4:5], v[108:109]                // 00000000AE70: D3B1406C 1802D904
	v_pk_mul_f32 v[110:111], v[4:5], v[110:111]                // 00000000AE78: D3B1406E 1802DD04
	v_cvt_pk_fp8_f32 v108, v108, v109                          // 00000000AE80: D2A2006C 0002DB6C
	v_cvt_pk_fp8_f32 v108, v110, v111 op_sel:[0,0,1]           // 00000000AE88: D2A2406C 0002DF6E
	v_rcp_f32_e32 v119, v119                                   // 00000000AE90: 7EEE4577
	v_lshrrev_b32_e32 v4, 5, v0                                // 00000000AE94: 20080085
	v_mul_lo_u32 v20, 34, v4                                   // 00000000AE98: D2850014 000208A2
	v_and_b32_e32 v4, 31, v0                                   // 00000000AEA0: 2608009F
	v_lshrrev_b32_e32 v5, 4, v4                                // 00000000AEA4: 200A0884
	v_add_u32_e32 v20, v5, v20                                 // 00000000AEA8: 68282905
	v_and_b32_e32 v4, 15, v0                                   // 00000000AEAC: 2608008F
	v_mul_lo_u32 v5, 2, v4                                     // 00000000AEB0: D2850005 00020882
	v_add_u32_e32 v20, v5, v20                                 // 00000000AEB8: 68282905
	s_mul_i32 s60, s7, 0x44                                    // 00000000AEBC: 923CFF07 00000044
	v_add_u32_e32 v20, s60, v20                                // 00000000AEC4: 6828283C
	v_lshlrev_b32_e32 v20, 2, v20                              // 00000000AEC8: 24282882
	ds_write_b32 v20, v48                                      // 00000000AECC: D81A0000 00003014
	ds_write_b32 v20, v52 offset:8704                          // 00000000AED4: D81A2200 00003414
	ds_write_b32 v20, v56 offset:1088                          // 00000000AEDC: D81A0440 00003814
	ds_write_b32 v20, v60 offset:9792                          // 00000000AEE4: D81A2640 00003C14
	ds_write_b32 v20, v64 offset:2176                          // 00000000AEEC: D81A0880 00004014
	ds_write_b32 v20, v68 offset:10880                         // 00000000AEF4: D81A2A80 00004414
	ds_write_b32 v20, v72 offset:3264                          // 00000000AEFC: D81A0CC0 00004814
	ds_write_b32 v20, v76 offset:11968                         // 00000000AF04: D81A2EC0 00004C14
	ds_write_b32 v20, v80 offset:4352                          // 00000000AF0C: D81A1100 00005014
	ds_write_b32 v20, v84 offset:13056                         // 00000000AF14: D81A3300 00005414
	ds_write_b32 v20, v88 offset:5440                          // 00000000AF1C: D81A1540 00005814
	ds_write_b32 v20, v92 offset:14144                         // 00000000AF24: D81A3740 00005C14
	ds_write_b32 v20, v96 offset:6528                          // 00000000AF2C: D81A1980 00006014
	ds_write_b32 v20, v100 offset:15232                        // 00000000AF34: D81A3B80 00006414
	ds_write_b32 v20, v104 offset:7616                         // 00000000AF3C: D81A1DC0 00006814
	ds_write_b32 v20, v108 offset:16320                        // 00000000AF44: D81A3FC0 00006C14
	v_lshrrev_b32_e32 v4, 5, v0                                // 00000000AF4C: 20080085
	v_xor_b32_e32 v5, 1, v4                                    // 00000000AF50: 2A0A0881
	s_mul_i32 s60, s65, 1                                      // 00000000AF54: 923C8141
	s_cmp_eq_u32 s88, 0                                        // 00000000AF58: BF068058
	s_cselect_b32 s61, 1, 8                                    // 00000000AF5C: 853D8881
	s_mul_i32 s60, s61, s60                                    // 00000000AF60: 923C3C3D
	v_readlane_b32 s82, v3, 0                                  // 00000000AF64: D2890052 00010103
	s_lshr_b32 s61, s82, 24                                    // 00000000AF6C: 8F3D9852
	s_and_b32 s82, s82, 0xffffff                               // 00000000AF70: 8652FF52 00FFFFFF
	s_mul_i32 s82, s82, s71                                    // 00000000AF78: 92524752
	s_mul_i32 s61, s60, s61                                    // 00000000AF7C: 923D3D3C
	s_add_u32 s82, s82, s61                                    // 00000000AF80: 80523D52
	v_mul_lo_u32 v6, v5, s82                                   // 00000000AF84: D2850006 0000A505
	v_readlane_b32 s82, v3, 1                                  // 00000000AF8C: D2890052 00010303
	s_lshr_b32 s61, s82, 24                                    // 00000000AF94: 8F3D9852
	s_and_b32 s82, s82, 0xffffff                               // 00000000AF98: 8652FF52 00FFFFFF
	s_mul_i32 s82, s82, s71                                    // 00000000AFA0: 92524752
	s_mul_i32 s61, s60, s61                                    // 00000000AFA4: 923D3D3C
	s_add_u32 s82, s82, s61                                    // 00000000AFA8: 80523D52
	v_mul_lo_u32 v7, v4, s82                                   // 00000000AFAC: D2850007 0000A504
	v_add_u32_e32 v36, v6, v7                                  // 00000000AFB4: 68480F06
	v_readlane_b32 s82, v3, 2                                  // 00000000AFB8: D2890052 00010503
	s_lshr_b32 s61, s82, 24                                    // 00000000AFC0: 8F3D9852
	s_and_b32 s82, s82, 0xffffff                               // 00000000AFC4: 8652FF52 00FFFFFF
	s_mul_i32 s82, s82, s71                                    // 00000000AFCC: 92524752
	s_mul_i32 s61, s60, s61                                    // 00000000AFD0: 923D3D3C
	s_add_u32 s82, s82, s61                                    // 00000000AFD4: 80523D52
	v_mul_lo_u32 v6, v5, s82                                   // 00000000AFD8: D2850006 0000A505
	v_readlane_b32 s82, v3, 3                                  // 00000000AFE0: D2890052 00010703
	s_lshr_b32 s61, s82, 24                                    // 00000000AFE8: 8F3D9852
	s_and_b32 s82, s82, 0xffffff                               // 00000000AFEC: 8652FF52 00FFFFFF
	s_mul_i32 s82, s82, s71                                    // 00000000AFF4: 92524752
	s_mul_i32 s61, s60, s61                                    // 00000000AFF8: 923D3D3C
	s_add_u32 s82, s82, s61                                    // 00000000AFFC: 80523D52
	v_mul_lo_u32 v7, v4, s82                                   // 00000000B000: D2850007 0000A504
	v_add_u32_e32 v37, v6, v7                                  // 00000000B008: 684A0F06
	v_readlane_b32 s82, v3, 4                                  // 00000000B00C: D2890052 00010903
	s_lshr_b32 s61, s82, 24                                    // 00000000B014: 8F3D9852
	s_and_b32 s82, s82, 0xffffff                               // 00000000B018: 8652FF52 00FFFFFF
	s_mul_i32 s82, s82, s71                                    // 00000000B020: 92524752
	s_mul_i32 s61, s60, s61                                    // 00000000B024: 923D3D3C
	s_add_u32 s82, s82, s61                                    // 00000000B028: 80523D52
	v_mul_lo_u32 v6, v5, s82                                   // 00000000B02C: D2850006 0000A505
	v_readlane_b32 s82, v3, 5                                  // 00000000B034: D2890052 00010B03
	s_lshr_b32 s61, s82, 24                                    // 00000000B03C: 8F3D9852
	s_and_b32 s82, s82, 0xffffff                               // 00000000B040: 8652FF52 00FFFFFF
	s_mul_i32 s82, s82, s71                                    // 00000000B048: 92524752
	s_mul_i32 s61, s60, s61                                    // 00000000B04C: 923D3D3C
	s_add_u32 s82, s82, s61                                    // 00000000B050: 80523D52
	v_mul_lo_u32 v7, v4, s82                                   // 00000000B054: D2850007 0000A504
	v_add_u32_e32 v38, v6, v7                                  // 00000000B05C: 684C0F06
	v_readlane_b32 s82, v3, 6                                  // 00000000B060: D2890052 00010D03
	s_lshr_b32 s61, s82, 24                                    // 00000000B068: 8F3D9852
	s_and_b32 s82, s82, 0xffffff                               // 00000000B06C: 8652FF52 00FFFFFF
	s_mul_i32 s82, s82, s71                                    // 00000000B074: 92524752
	s_mul_i32 s61, s60, s61                                    // 00000000B078: 923D3D3C
	s_add_u32 s82, s82, s61                                    // 00000000B07C: 80523D52
	v_mul_lo_u32 v6, v5, s82                                   // 00000000B080: D2850006 0000A505
	v_readlane_b32 s82, v3, 7                                  // 00000000B088: D2890052 00010F03
	s_lshr_b32 s61, s82, 24                                    // 00000000B090: 8F3D9852
	s_and_b32 s82, s82, 0xffffff                               // 00000000B094: 8652FF52 00FFFFFF
	s_mul_i32 s82, s82, s71                                    // 00000000B09C: 92524752
	s_mul_i32 s61, s60, s61                                    // 00000000B0A0: 923D3D3C
	s_add_u32 s82, s82, s61                                    // 00000000B0A4: 80523D52
	v_mul_lo_u32 v7, v4, s82                                   // 00000000B0A8: D2850007 0000A504
	v_add_u32_e32 v39, v6, v7                                  // 00000000B0B0: 684E0F06
	v_and_b32_e32 v4, 31, v0                                   // 00000000B0B4: 2608009F
	v_lshrrev_b32_e32 v4, 1, v4                                // 00000000B0B8: 20080881
	s_cmp_eq_u32 s88, 0                                        // 00000000B0BC: BF068058
	s_cselect_b32 s61, 2, 4                                    // 00000000B0C0: 853D8482
	v_mul_lo_u32 v4, v4, s61                                   // 00000000B0C4: D2850004 00007B04
	v_and_b32_e64 v5, v0, 1                                    // 00000000B0CC: D1130005 00010300
	v_add_u32_e32 v4, v4, v5                                   // 00000000B0D4: 68080B04
	v_lshlrev_b32_e32 v4, 2, v4                                // 00000000B0D8: 24080882
	v_add_u32_e32 v36, v36, v4                                 // 00000000B0DC: 68480924
	v_add_u32_e32 v37, v37, v4                                 // 00000000B0E0: 684A0925
	v_add_u32_e32 v38, v38, v4                                 // 00000000B0E4: 684C0926
	v_add_u32_e32 v39, v39, v4                                 // 00000000B0E8: 684E0927
	s_waitcnt lgkmcnt(0)                                       // 00000000B0EC: BF8CC07F
	s_barrier                                                  // 00000000B0F0: BF8A0000
	ds_read_b32 v48, v21                                       // 00000000B0F4: D86C0000 30000015
	ds_read_b32 v49, v21 offset:64                             // 00000000B0FC: D86C0040 31000015
	ds_read_b32 v50, v21 offset:2176                           // 00000000B104: D86C0880 32000015
	ds_read_b32 v51, v21 offset:2240                           // 00000000B10C: D86C08C0 33000015
	ds_read_b32 v52, v21 offset:4352                           // 00000000B114: D86C1100 34000015
	ds_read_b32 v53, v21 offset:4416                           // 00000000B11C: D86C1140 35000015
	ds_read_b32 v54, v21 offset:6528                           // 00000000B124: D86C1980 36000015
	ds_read_b32 v55, v21 offset:6592                           // 00000000B12C: D86C19C0 37000015
	ds_read_b32 v56, v21 offset:8704                           // 00000000B134: D86C2200 38000015
	ds_read_b32 v57, v21 offset:8768                           // 00000000B13C: D86C2240 39000015
	ds_read_b32 v58, v21 offset:10880                          // 00000000B144: D86C2A80 3A000015
	ds_read_b32 v59, v21 offset:10944                          // 00000000B14C: D86C2AC0 3B000015
	ds_read_b32 v60, v21 offset:13056                          // 00000000B154: D86C3300 3C000015
	ds_read_b32 v61, v21 offset:13120                          // 00000000B15C: D86C3340 3D000015
	ds_read_b32 v62, v21 offset:15232                          // 00000000B164: D86C3B80 3E000015
	ds_read_b32 v63, v21 offset:15296                          // 00000000B16C: D86C3BC0 3F000015
	s_waitcnt lgkmcnt(0)                                       // 00000000B174: BF8CC07F
	s_mov_b32 s36, -1                                          // 00000000B178: BEA400C1
	s_mov_b32 s37, -1                                          // 00000000B17C: BEA500C1
	v_mov_b32_e32 v7, 0                                        // 00000000B180: 7E0E0280
	s_or_b32 s9, s9, 0x40000                                   // 00000000B184: 8709FF09 00040000
	s_mov_b64 exec, s[36:37]                                   // 00000000B18C: BEFE0124
	v_mov_b32_e32 v6, v36                                      // 00000000B190: 7E0C0324
	s_mov_b64 s[60:61], 0                                      // 00000000B194: BEBC0180
	v_readlane_b32 s82, v3, 0                                  // 00000000B198: D2890052 00010103
	s_and_b32 s82, s82, 0xffffff                               // 00000000B1A0: 8652FF52 00FFFFFF
	s_cmp_lt_u32 s82, s66                                      // 00000000B1A8: BF0A4252
	s_cselect_b32 s20, s36, s60                                // 00000000B1AC: 85143C24
	v_readlane_b32 s82, v3, 1                                  // 00000000B1B0: D2890052 00010303
	s_and_b32 s82, s82, 0xffffff                               // 00000000B1B8: 8652FF52 00FFFFFF
	s_cmp_lt_u32 s82, s66                                      // 00000000B1C0: BF0A4252
	s_cselect_b32 s21, s36, s60                                // 00000000B1C4: 85153C24
	s_mov_b64 exec, s[20:21]                                   // 00000000B1C8: BEFE0114
	buffer_store_dword v48, v6, s[8:11], 0 offen               // 00000000B1CC: E0701000 80023006
	buffer_store_dword v50, v6, s[8:11], 0 offen offset:128    // 00000000B1D4: E0701080 80023206
	buffer_store_dword v52, v6, s[8:11], 0 offen offset:256    // 00000000B1DC: E0701100 80023406
	buffer_store_dword v54, v6, s[8:11], 0 offen offset:384    // 00000000B1E4: E0701180 80023606
	s_mov_b64 exec, s[36:37]                                   // 00000000B1EC: BEFE0124
	v_mov_b32_e32 v6, v37                                      // 00000000B1F0: 7E0C0325
	s_mov_b64 s[60:61], 0                                      // 00000000B1F4: BEBC0180
	v_readlane_b32 s82, v3, 2                                  // 00000000B1F8: D2890052 00010503
	s_and_b32 s82, s82, 0xffffff                               // 00000000B200: 8652FF52 00FFFFFF
	s_cmp_lt_u32 s82, s66                                      // 00000000B208: BF0A4252
	s_cselect_b32 s20, s36, s60                                // 00000000B20C: 85143C24
	v_readlane_b32 s82, v3, 3                                  // 00000000B210: D2890052 00010703
	s_and_b32 s82, s82, 0xffffff                               // 00000000B218: 8652FF52 00FFFFFF
	s_cmp_lt_u32 s82, s66                                      // 00000000B220: BF0A4252
	s_cselect_b32 s21, s36, s60                                // 00000000B224: 85153C24
	s_mov_b64 exec, s[20:21]                                   // 00000000B228: BEFE0114
	buffer_store_dword v49, v6, s[8:11], 0 offen               // 00000000B22C: E0701000 80023106
	buffer_store_dword v51, v6, s[8:11], 0 offen offset:128    // 00000000B234: E0701080 80023306
	buffer_store_dword v53, v6, s[8:11], 0 offen offset:256    // 00000000B23C: E0701100 80023506
	buffer_store_dword v55, v6, s[8:11], 0 offen offset:384    // 00000000B244: E0701180 80023706
	s_mov_b64 exec, s[36:37]                                   // 00000000B24C: BEFE0124
	v_mov_b32_e32 v6, v38                                      // 00000000B250: 7E0C0326
	s_mov_b64 s[60:61], 0                                      // 00000000B254: BEBC0180
	v_readlane_b32 s82, v3, 4                                  // 00000000B258: D2890052 00010903
	s_and_b32 s82, s82, 0xffffff                               // 00000000B260: 8652FF52 00FFFFFF
	s_cmp_lt_u32 s82, s66                                      // 00000000B268: BF0A4252
	s_cselect_b32 s20, s36, s60                                // 00000000B26C: 85143C24
	v_readlane_b32 s82, v3, 5                                  // 00000000B270: D2890052 00010B03
	s_and_b32 s82, s82, 0xffffff                               // 00000000B278: 8652FF52 00FFFFFF
	s_cmp_lt_u32 s82, s66                                      // 00000000B280: BF0A4252
	s_cselect_b32 s21, s36, s60                                // 00000000B284: 85153C24
	s_mov_b64 exec, s[20:21]                                   // 00000000B288: BEFE0114
	buffer_store_dword v56, v6, s[8:11], 0 offen               // 00000000B28C: E0701000 80023806
	buffer_store_dword v58, v6, s[8:11], 0 offen offset:128    // 00000000B294: E0701080 80023A06
	buffer_store_dword v60, v6, s[8:11], 0 offen offset:256    // 00000000B29C: E0701100 80023C06
	buffer_store_dword v62, v6, s[8:11], 0 offen offset:384    // 00000000B2A4: E0701180 80023E06
	s_mov_b64 exec, s[36:37]                                   // 00000000B2AC: BEFE0124
	v_mov_b32_e32 v6, v39                                      // 00000000B2B0: 7E0C0327
	s_mov_b64 s[60:61], 0                                      // 00000000B2B4: BEBC0180
	v_readlane_b32 s82, v3, 6                                  // 00000000B2B8: D2890052 00010D03
	s_and_b32 s82, s82, 0xffffff                               // 00000000B2C0: 8652FF52 00FFFFFF
	s_cmp_lt_u32 s82, s66                                      // 00000000B2C8: BF0A4252
	s_cselect_b32 s20, s36, s60                                // 00000000B2CC: 85143C24
	v_readlane_b32 s82, v3, 7                                  // 00000000B2D0: D2890052 00010F03
	s_and_b32 s82, s82, 0xffffff                               // 00000000B2D8: 8652FF52 00FFFFFF
	s_cmp_lt_u32 s82, s66                                      // 00000000B2E0: BF0A4252
	s_cselect_b32 s21, s36, s60                                // 00000000B2E4: 85153C24
	s_mov_b64 exec, s[20:21]                                   // 00000000B2E8: BEFE0114
	buffer_store_dword v57, v6, s[8:11], 0 offen               // 00000000B2EC: E0701000 80023906
	buffer_store_dword v59, v6, s[8:11], 0 offen offset:128    // 00000000B2F4: E0701080 80023B06
	buffer_store_dword v61, v6, s[8:11], 0 offen offset:256    // 00000000B2FC: E0701100 80023D06
	buffer_store_dword v63, v6, s[8:11], 0 offen offset:384    // 00000000B304: E0701180 80023F06
	s_mov_b64 exec, s[36:37]                                   // 00000000B30C: BEFE0124
	s_cmp_eq_u32 s7, 0                                         // 00000000B310: BF068007
	s_cbranch_scc0 label_267C                                  // 00000000B314: BF840433
	s_waitcnt vmcnt(16)                                        // 00000000B318: BF8C4F70
	s_mov_b32 s8, s90                                          // 00000000B31C: BE88005A
	s_mov_b32 s9, s91                                          // 00000000B320: BE89005B
	s_mul_i32 s60, s66, s71                                    // 00000000B324: 923C4742
	s_add_u32 s8, s60, s8                                      // 00000000B328: 8008083C
	s_addc_u32 s9, 0, s9                                       // 00000000B32C: 82090980
	s_lshr_b32 s71, s71, 5                                     // 00000000B330: 8F478547
	s_mul_i32 s60, s66, s71                                    // 00000000B334: 923C4742
	s_mov_b32 s10, s60                                         // 00000000B338: BE8A003C
	s_lshr_b32 s61, s65, 5                                     // 00000000B33C: 8F3D8541
	s_mul_i32 s60, s2, 16                                      // 00000000B340: 923C9002
	v_lshrrev_b32_e32 v4, 24, v28                              // 00000000B344: 20083898
	v_mul_lo_u32 v4, s61, v4                                   // 00000000B348: D2850004 0002083D
	v_and_b32_e32 v28, 0xffffff, v28                           // 00000000B350: 263838FF 00FFFFFF
	v_mul_lo_u32 v28, s71, v28                                 // 00000000B358: D285001C 00023847
	v_add_u32_e32 v28, v4, v28                                 // 00000000B360: 68383904
	v_add_u32_e32 v28, s60, v28                                // 00000000B364: 6838383C
	v_lshrrev_b32_e32 v4, 24, v29                              // 00000000B368: 20083A98
	v_mul_lo_u32 v4, s61, v4                                   // 00000000B36C: D2850004 0002083D
	v_and_b32_e32 v29, 0xffffff, v29                           // 00000000B374: 263A3AFF 00FFFFFF
	v_mul_lo_u32 v29, s71, v29                                 // 00000000B37C: D285001D 00023A47
	v_add_u32_e32 v29, v4, v29                                 // 00000000B384: 683A3B04
	v_add_u32_e32 v29, s60, v29                                // 00000000B388: 683A3A3C
	s_mov_b64 exec, 0xffff                                     // 00000000B38C: BEFE01FF 0000FFFF
	buffer_store_dword v112, v28, s[8:11], 0 offen             // 00000000B394: E0701000 8002701C
	buffer_store_dword v114, v28, s[8:11], 0 offen offset:4    // 00000000B39C: E0701004 8002721C
	buffer_store_dword v116, v28, s[8:11], 0 offen offset:8    // 00000000B3A4: E0701008 8002741C
	buffer_store_dword v118, v28, s[8:11], 0 offen offset:12   // 00000000B3AC: E070100C 8002761C
	buffer_store_dword v113, v29, s[8:11], 0 offen             // 00000000B3B4: E0701000 8002711D
	buffer_store_dword v115, v29, s[8:11], 0 offen offset:4    // 00000000B3BC: E0701004 8002731D
	buffer_store_dword v117, v29, s[8:11], 0 offen offset:8    // 00000000B3C4: E0701008 8002751D
	buffer_store_dword v119, v29, s[8:11], 0 offen offset:12   // 00000000B3CC: E070100C 8002771D
	s_mov_b64 exec, s[36:37]                                   // 00000000B3D4: BEFE0124
	s_branch label_267C                                        // 00000000B3D8: BF820402

000000000000b3dc <label_227A>:
	ds_write_b64 v20, v[48:49]                                 // 00000000B3DC: D89A0000 00003014
	ds_write_b64 v20, v[52:53] offset:17408                    // 00000000B3E4: D89A4400 00003414
	ds_write_b64 v20, v[56:57] offset:2176                     // 00000000B3EC: D89A0880 00003814
	ds_write_b64 v20, v[60:61] offset:19584                    // 00000000B3F4: D89A4C80 00003C14
	ds_write_b64 v20, v[64:65] offset:4352                     // 00000000B3FC: D89A1100 00004014
	ds_write_b64 v20, v[68:69] offset:21760                    // 00000000B404: D89A5500 00004414
	ds_write_b64 v20, v[72:73] offset:6528                     // 00000000B40C: D89A1980 00004814
	ds_write_b64 v20, v[76:77] offset:23936                    // 00000000B414: D89A5D80 00004C14
	ds_write_b64 v20, v[80:81] offset:8704                     // 00000000B41C: D89A2200 00005014
	ds_write_b64 v20, v[84:85] offset:26112                    // 00000000B424: D89A6600 00005414
	ds_write_b64 v20, v[88:89] offset:10880                    // 00000000B42C: D89A2A80 00005814
	ds_write_b64 v20, v[92:93] offset:28288                    // 00000000B434: D89A6E80 00005C14
	ds_write_b64 v20, v[96:97] offset:13056                    // 00000000B43C: D89A3300 00006014
	ds_write_b64 v20, v[100:101] offset:30464                  // 00000000B444: D89A7700 00006414
	ds_write_b64 v20, v[104:105] offset:15232                  // 00000000B44C: D89A3B80 00006814
	ds_write_b64 v20, v[108:109] offset:32640                  // 00000000B454: D89A7F80 00006C14
	v_lshrrev_b32_e32 v4, 5, v0                                // 00000000B45C: 20080085
	v_xor_b32_e32 v5, 1, v4                                    // 00000000B460: 2A0A0881
	s_mul_i32 s60, s65, 1                                      // 00000000B464: 923C8141
	s_cmp_eq_u32 s88, 0                                        // 00000000B468: BF068058
	s_cselect_b32 s61, 1, 8                                    // 00000000B46C: 853D8881
	s_mul_i32 s60, s61, s60                                    // 00000000B470: 923C3C3D
	v_readlane_b32 s82, v3, 0                                  // 00000000B474: D2890052 00010103
	s_lshr_b32 s61, s82, 24                                    // 00000000B47C: 8F3D9852
	s_and_b32 s82, s82, 0xffffff                               // 00000000B480: 8652FF52 00FFFFFF
	s_mul_i32 s82, s82, s71                                    // 00000000B488: 92524752
	s_mul_i32 s61, s60, s61                                    // 00000000B48C: 923D3D3C
	s_add_u32 s82, s82, s61                                    // 00000000B490: 80523D52
	v_mul_lo_u32 v6, v5, s82                                   // 00000000B494: D2850006 0000A505
	v_readlane_b32 s82, v3, 1                                  // 00000000B49C: D2890052 00010303
	s_lshr_b32 s61, s82, 24                                    // 00000000B4A4: 8F3D9852
	s_and_b32 s82, s82, 0xffffff                               // 00000000B4A8: 8652FF52 00FFFFFF
	s_mul_i32 s82, s82, s71                                    // 00000000B4B0: 92524752
	s_mul_i32 s61, s60, s61                                    // 00000000B4B4: 923D3D3C
	s_add_u32 s82, s82, s61                                    // 00000000B4B8: 80523D52
	v_mul_lo_u32 v7, v4, s82                                   // 00000000B4BC: D2850007 0000A504
	v_add_u32_e32 v36, v6, v7                                  // 00000000B4C4: 68480F06
	v_readlane_b32 s82, v3, 2                                  // 00000000B4C8: D2890052 00010503
	s_lshr_b32 s61, s82, 24                                    // 00000000B4D0: 8F3D9852
	s_and_b32 s82, s82, 0xffffff                               // 00000000B4D4: 8652FF52 00FFFFFF
	s_mul_i32 s82, s82, s71                                    // 00000000B4DC: 92524752
	s_mul_i32 s61, s60, s61                                    // 00000000B4E0: 923D3D3C
	s_add_u32 s82, s82, s61                                    // 00000000B4E4: 80523D52
	v_mul_lo_u32 v6, v5, s82                                   // 00000000B4E8: D2850006 0000A505
	v_readlane_b32 s82, v3, 3                                  // 00000000B4F0: D2890052 00010703
	s_lshr_b32 s61, s82, 24                                    // 00000000B4F8: 8F3D9852
	s_and_b32 s82, s82, 0xffffff                               // 00000000B4FC: 8652FF52 00FFFFFF
	s_mul_i32 s82, s82, s71                                    // 00000000B504: 92524752
	s_mul_i32 s61, s60, s61                                    // 00000000B508: 923D3D3C
	s_add_u32 s82, s82, s61                                    // 00000000B50C: 80523D52
	v_mul_lo_u32 v7, v4, s82                                   // 00000000B510: D2850007 0000A504
	v_add_u32_e32 v37, v6, v7                                  // 00000000B518: 684A0F06
	v_readlane_b32 s82, v3, 4                                  // 00000000B51C: D2890052 00010903
	s_lshr_b32 s61, s82, 24                                    // 00000000B524: 8F3D9852
	s_and_b32 s82, s82, 0xffffff                               // 00000000B528: 8652FF52 00FFFFFF
	s_mul_i32 s82, s82, s71                                    // 00000000B530: 92524752
	s_mul_i32 s61, s60, s61                                    // 00000000B534: 923D3D3C
	s_add_u32 s82, s82, s61                                    // 00000000B538: 80523D52
	v_mul_lo_u32 v6, v5, s82                                   // 00000000B53C: D2850006 0000A505
	v_readlane_b32 s82, v3, 5                                  // 00000000B544: D2890052 00010B03
	s_lshr_b32 s61, s82, 24                                    // 00000000B54C: 8F3D9852
	s_and_b32 s82, s82, 0xffffff                               // 00000000B550: 8652FF52 00FFFFFF
	s_mul_i32 s82, s82, s71                                    // 00000000B558: 92524752
	s_mul_i32 s61, s60, s61                                    // 00000000B55C: 923D3D3C
	s_add_u32 s82, s82, s61                                    // 00000000B560: 80523D52
	v_mul_lo_u32 v7, v4, s82                                   // 00000000B564: D2850007 0000A504
	v_add_u32_e32 v38, v6, v7                                  // 00000000B56C: 684C0F06
	v_readlane_b32 s82, v3, 6                                  // 00000000B570: D2890052 00010D03
	s_lshr_b32 s61, s82, 24                                    // 00000000B578: 8F3D9852
	s_and_b32 s82, s82, 0xffffff                               // 00000000B57C: 8652FF52 00FFFFFF
	s_mul_i32 s82, s82, s71                                    // 00000000B584: 92524752
	s_mul_i32 s61, s60, s61                                    // 00000000B588: 923D3D3C
	s_add_u32 s82, s82, s61                                    // 00000000B58C: 80523D52
	v_mul_lo_u32 v6, v5, s82                                   // 00000000B590: D2850006 0000A505
	v_readlane_b32 s82, v3, 7                                  // 00000000B598: D2890052 00010F03
	s_lshr_b32 s61, s82, 24                                    // 00000000B5A0: 8F3D9852
	s_and_b32 s82, s82, 0xffffff                               // 00000000B5A4: 8652FF52 00FFFFFF
	s_mul_i32 s82, s82, s71                                    // 00000000B5AC: 92524752
	s_mul_i32 s61, s60, s61                                    // 00000000B5B0: 923D3D3C
	s_add_u32 s82, s82, s61                                    // 00000000B5B4: 80523D52
	v_mul_lo_u32 v7, v4, s82                                   // 00000000B5B8: D2850007 0000A504
	v_add_u32_e32 v39, v6, v7                                  // 00000000B5C0: 684E0F06
	v_and_b32_e32 v4, 31, v0                                   // 00000000B5C4: 2608009F
	v_lshrrev_b32_e32 v4, 1, v4                                // 00000000B5C8: 20080881
	s_cmp_eq_u32 s88, 0                                        // 00000000B5CC: BF068058
	s_cselect_b32 s61, 2, 4                                    // 00000000B5D0: 853D8482
	v_mul_lo_u32 v4, v4, s61                                   // 00000000B5D4: D2850004 00007B04
	v_and_b32_e64 v5, v0, 1                                    // 00000000B5DC: D1130005 00010300
	v_add_u32_e32 v4, v4, v5                                   // 00000000B5E4: 68080B04
	v_lshlrev_b32_e32 v4, 2, v4                                // 00000000B5E8: 24080882
	v_add_u32_e32 v36, v36, v4                                 // 00000000B5EC: 68480924
	v_add_u32_e32 v37, v37, v4                                 // 00000000B5F0: 684A0925
	v_add_u32_e32 v38, v38, v4                                 // 00000000B5F4: 684C0926
	v_add_u32_e32 v39, v39, v4                                 // 00000000B5F8: 684E0927
	s_waitcnt lgkmcnt(0)                                       // 00000000B5FC: BF8CC07F
	s_barrier                                                  // 00000000B600: BF8A0000
	ds_read_b32 v48, v21                                       // 00000000B604: D86C0000 30000015
	ds_read_b32 v49, v21 offset:64                             // 00000000B60C: D86C0040 31000015
	ds_read_b32 v52, v21 offset:2176                           // 00000000B614: D86C0880 34000015
	ds_read_b32 v53, v21 offset:2240                           // 00000000B61C: D86C08C0 35000015
	ds_read_b32 v56, v21 offset:4352                           // 00000000B624: D86C1100 38000015
	ds_read_b32 v57, v21 offset:4416                           // 00000000B62C: D86C1140 39000015
	ds_read_b32 v60, v21 offset:6528                           // 00000000B634: D86C1980 3C000015
	ds_read_b32 v61, v21 offset:6592                           // 00000000B63C: D86C19C0 3D000015
	ds_read_b32 v64, v21 offset:8704                           // 00000000B644: D86C2200 40000015
	ds_read_b32 v65, v21 offset:8768                           // 00000000B64C: D86C2240 41000015
	ds_read_b32 v68, v21 offset:10880                          // 00000000B654: D86C2A80 44000015
	ds_read_b32 v69, v21 offset:10944                          // 00000000B65C: D86C2AC0 45000015
	ds_read_b32 v72, v21 offset:13056                          // 00000000B664: D86C3300 48000015
	ds_read_b32 v73, v21 offset:13120                          // 00000000B66C: D86C3340 49000015
	ds_read_b32 v76, v21 offset:15232                          // 00000000B674: D86C3B80 4C000015
	ds_read_b32 v77, v21 offset:15296                          // 00000000B67C: D86C3BC0 4D000015
	ds_read_b32 v80, v21 offset:17408                          // 00000000B684: D86C4400 50000015
	ds_read_b32 v81, v21 offset:17472                          // 00000000B68C: D86C4440 51000015
	ds_read_b32 v84, v21 offset:19584                          // 00000000B694: D86C4C80 54000015
	ds_read_b32 v85, v21 offset:19648                          // 00000000B69C: D86C4CC0 55000015
	ds_read_b32 v88, v21 offset:21760                          // 00000000B6A4: D86C5500 58000015
	ds_read_b32 v89, v21 offset:21824                          // 00000000B6AC: D86C5540 59000015
	ds_read_b32 v92, v21 offset:23936                          // 00000000B6B4: D86C5D80 5C000015
	ds_read_b32 v93, v21 offset:24000                          // 00000000B6BC: D86C5DC0 5D000015
	ds_read_b32 v96, v21 offset:26112                          // 00000000B6C4: D86C6600 60000015
	ds_read_b32 v97, v21 offset:26176                          // 00000000B6CC: D86C6640 61000015
	ds_read_b32 v100, v21 offset:28288                         // 00000000B6D4: D86C6E80 64000015
	ds_read_b32 v101, v21 offset:28352                         // 00000000B6DC: D86C6EC0 65000015
	ds_read_b32 v104, v21 offset:30464                         // 00000000B6E4: D86C7700 68000015
	ds_read_b32 v105, v21 offset:30528                         // 00000000B6EC: D86C7740 69000015
	ds_read_b32 v108, v21 offset:32640                         // 00000000B6F4: D86C7F80 6C000015
	ds_read_b32 v109, v21 offset:32704                         // 00000000B6FC: D86C7FC0 6D000015
	s_waitcnt lgkmcnt(0)                                       // 00000000B704: BF8CC07F
	s_mov_b32 s36, -1                                          // 00000000B708: BEA400C1
	s_mov_b32 s37, -1                                          // 00000000B70C: BEA500C1
	v_mov_b32_e32 v7, 0                                        // 00000000B710: 7E0E0280
	s_mov_b64 exec, s[36:37]                                   // 00000000B714: BEFE0124
	v_mov_b32_e32 v6, v36                                      // 00000000B718: 7E0C0324
	s_mov_b64 s[60:61], 0                                      // 00000000B71C: BEBC0180
	v_readlane_b32 s82, v3, 0                                  // 00000000B720: D2890052 00010103
	s_and_b32 s82, s82, 0xffffff                               // 00000000B728: 8652FF52 00FFFFFF
	s_cmp_lt_u32 s82, s66                                      // 00000000B730: BF0A4252
	s_cselect_b32 s20, s36, s60                                // 00000000B734: 85143C24
	v_readlane_b32 s82, v3, 1                                  // 00000000B738: D2890052 00010303
	s_and_b32 s82, s82, 0xffffff                               // 00000000B740: 8652FF52 00FFFFFF
	s_cmp_lt_u32 s82, s66                                      // 00000000B748: BF0A4252
	s_cselect_b32 s21, s36, s60                                // 00000000B74C: 85153C24
	s_mov_b64 exec, s[20:21]                                   // 00000000B750: BEFE0114
	global_atomic_add_f32 v6, v48, s[8:9]                      // 00000000B754: DD348000 00083006
	global_atomic_add_f32 v6, v52, s[8:9] offset:256           // 00000000B75C: DD348100 00083406
	global_atomic_add_f32 v6, v56, s[8:9] offset:512           // 00000000B764: DD348200 00083806
	global_atomic_add_f32 v6, v60, s[8:9] offset:768           // 00000000B76C: DD348300 00083C06
	global_atomic_add_f32 v6, v64, s[8:9] offset:1024          // 00000000B774: DD348400 00084006
	global_atomic_add_f32 v6, v68, s[8:9] offset:1280          // 00000000B77C: DD348500 00084406
	global_atomic_add_f32 v6, v72, s[8:9] offset:1536          // 00000000B784: DD348600 00084806
	global_atomic_add_f32 v6, v76, s[8:9] offset:1792          // 00000000B78C: DD348700 00084C06
	s_mov_b64 exec, s[36:37]                                   // 00000000B794: BEFE0124
	v_mov_b32_e32 v6, v37                                      // 00000000B798: 7E0C0325
	s_mov_b64 s[60:61], 0                                      // 00000000B79C: BEBC0180
	v_readlane_b32 s82, v3, 2                                  // 00000000B7A0: D2890052 00010503
	s_and_b32 s82, s82, 0xffffff                               // 00000000B7A8: 8652FF52 00FFFFFF
	s_cmp_lt_u32 s82, s66                                      // 00000000B7B0: BF0A4252
	s_cselect_b32 s20, s36, s60                                // 00000000B7B4: 85143C24
	v_readlane_b32 s82, v3, 3                                  // 00000000B7B8: D2890052 00010703
	s_and_b32 s82, s82, 0xffffff                               // 00000000B7C0: 8652FF52 00FFFFFF
	s_cmp_lt_u32 s82, s66                                      // 00000000B7C8: BF0A4252
	s_cselect_b32 s21, s36, s60                                // 00000000B7CC: 85153C24
	s_mov_b64 exec, s[20:21]                                   // 00000000B7D0: BEFE0114
	global_atomic_add_f32 v6, v49, s[8:9]                      // 00000000B7D4: DD348000 00083106
	global_atomic_add_f32 v6, v53, s[8:9] offset:256           // 00000000B7DC: DD348100 00083506
	global_atomic_add_f32 v6, v57, s[8:9] offset:512           // 00000000B7E4: DD348200 00083906
	global_atomic_add_f32 v6, v61, s[8:9] offset:768           // 00000000B7EC: DD348300 00083D06
	global_atomic_add_f32 v6, v65, s[8:9] offset:1024          // 00000000B7F4: DD348400 00084106
	global_atomic_add_f32 v6, v69, s[8:9] offset:1280          // 00000000B7FC: DD348500 00084506
	global_atomic_add_f32 v6, v73, s[8:9] offset:1536          // 00000000B804: DD348600 00084906
	global_atomic_add_f32 v6, v77, s[8:9] offset:1792          // 00000000B80C: DD348700 00084D06
	s_mov_b64 exec, s[36:37]                                   // 00000000B814: BEFE0124
	v_mov_b32_e32 v6, v38                                      // 00000000B818: 7E0C0326
	s_mov_b64 s[60:61], 0                                      // 00000000B81C: BEBC0180
	v_readlane_b32 s82, v3, 4                                  // 00000000B820: D2890052 00010903
	s_and_b32 s82, s82, 0xffffff                               // 00000000B828: 8652FF52 00FFFFFF
	s_cmp_lt_u32 s82, s66                                      // 00000000B830: BF0A4252
	s_cselect_b32 s20, s36, s60                                // 00000000B834: 85143C24
	v_readlane_b32 s82, v3, 5                                  // 00000000B838: D2890052 00010B03
	s_and_b32 s82, s82, 0xffffff                               // 00000000B840: 8652FF52 00FFFFFF
	s_cmp_lt_u32 s82, s66                                      // 00000000B848: BF0A4252
	s_cselect_b32 s21, s36, s60                                // 00000000B84C: 85153C24
	s_mov_b64 exec, s[20:21]                                   // 00000000B850: BEFE0114
	global_atomic_add_f32 v6, v80, s[8:9]                      // 00000000B854: DD348000 00085006
	global_atomic_add_f32 v6, v84, s[8:9] offset:256           // 00000000B85C: DD348100 00085406
	global_atomic_add_f32 v6, v88, s[8:9] offset:512           // 00000000B864: DD348200 00085806
	global_atomic_add_f32 v6, v92, s[8:9] offset:768           // 00000000B86C: DD348300 00085C06
	global_atomic_add_f32 v6, v96, s[8:9] offset:1024          // 00000000B874: DD348400 00086006
	global_atomic_add_f32 v6, v100, s[8:9] offset:1280         // 00000000B87C: DD348500 00086406
	global_atomic_add_f32 v6, v104, s[8:9] offset:1536         // 00000000B884: DD348600 00086806
	global_atomic_add_f32 v6, v108, s[8:9] offset:1792         // 00000000B88C: DD348700 00086C06
	s_mov_b64 exec, s[36:37]                                   // 00000000B894: BEFE0124
	v_mov_b32_e32 v6, v39                                      // 00000000B898: 7E0C0327
	s_mov_b64 s[60:61], 0                                      // 00000000B89C: BEBC0180
	v_readlane_b32 s82, v3, 6                                  // 00000000B8A0: D2890052 00010D03
	s_and_b32 s82, s82, 0xffffff                               // 00000000B8A8: 8652FF52 00FFFFFF
	s_cmp_lt_u32 s82, s66                                      // 00000000B8B0: BF0A4252
	s_cselect_b32 s20, s36, s60                                // 00000000B8B4: 85143C24
	v_readlane_b32 s82, v3, 7                                  // 00000000B8B8: D2890052 00010F03
	s_and_b32 s82, s82, 0xffffff                               // 00000000B8C0: 8652FF52 00FFFFFF
	s_cmp_lt_u32 s82, s66                                      // 00000000B8C8: BF0A4252
	s_cselect_b32 s21, s36, s60                                // 00000000B8CC: 85153C24
	s_mov_b64 exec, s[20:21]                                   // 00000000B8D0: BEFE0114
	global_atomic_add_f32 v6, v81, s[8:9]                      // 00000000B8D4: DD348000 00085106
	global_atomic_add_f32 v6, v85, s[8:9] offset:256           // 00000000B8DC: DD348100 00085506
	global_atomic_add_f32 v6, v89, s[8:9] offset:512           // 00000000B8E4: DD348200 00085906
	global_atomic_add_f32 v6, v93, s[8:9] offset:768           // 00000000B8EC: DD348300 00085D06
	global_atomic_add_f32 v6, v97, s[8:9] offset:1024          // 00000000B8F4: DD348400 00086106
	global_atomic_add_f32 v6, v101, s[8:9] offset:1280         // 00000000B8FC: DD348500 00086506
	global_atomic_add_f32 v6, v105, s[8:9] offset:1536         // 00000000B904: DD348600 00086906
	global_atomic_add_f32 v6, v109, s[8:9] offset:1792         // 00000000B90C: DD348700 00086D06
	s_mov_b64 exec, s[36:37]                                   // 00000000B914: BEFE0124
	ds_write_b64 v20, v[50:51]                                 // 00000000B918: D89A0000 00003214
	ds_write_b64 v20, v[54:55] offset:17408                    // 00000000B920: D89A4400 00003614
	ds_write_b64 v20, v[58:59] offset:2176                     // 00000000B928: D89A0880 00003A14
	ds_write_b64 v20, v[62:63] offset:19584                    // 00000000B930: D89A4C80 00003E14
	ds_write_b64 v20, v[66:67] offset:4352                     // 00000000B938: D89A1100 00004214
	ds_write_b64 v20, v[70:71] offset:21760                    // 00000000B940: D89A5500 00004614
	ds_write_b64 v20, v[74:75] offset:6528                     // 00000000B948: D89A1980 00004A14
	ds_write_b64 v20, v[78:79] offset:23936                    // 00000000B950: D89A5D80 00004E14
	ds_write_b64 v20, v[82:83] offset:8704                     // 00000000B958: D89A2200 00005214
	ds_write_b64 v20, v[86:87] offset:26112                    // 00000000B960: D89A6600 00005614
	ds_write_b64 v20, v[90:91] offset:10880                    // 00000000B968: D89A2A80 00005A14
	ds_write_b64 v20, v[94:95] offset:28288                    // 00000000B970: D89A6E80 00005E14
	ds_write_b64 v20, v[98:99] offset:13056                    // 00000000B978: D89A3300 00006214
	ds_write_b64 v20, v[102:103] offset:30464                  // 00000000B980: D89A7700 00006614
	ds_write_b64 v20, v[106:107] offset:15232                  // 00000000B988: D89A3B80 00006A14
	ds_write_b64 v20, v[110:111] offset:32640                  // 00000000B990: D89A7F80 00006E14
	s_waitcnt lgkmcnt(0)                                       // 00000000B998: BF8CC07F
	s_barrier                                                  // 00000000B99C: BF8A0000
	ds_read_b32 v50, v21                                       // 00000000B9A0: D86C0000 32000015
	ds_read_b32 v51, v21 offset:64                             // 00000000B9A8: D86C0040 33000015
	ds_read_b32 v54, v21 offset:2176                           // 00000000B9B0: D86C0880 36000015
	ds_read_b32 v55, v21 offset:2240                           // 00000000B9B8: D86C08C0 37000015
	ds_read_b32 v58, v21 offset:4352                           // 00000000B9C0: D86C1100 3A000015
	ds_read_b32 v59, v21 offset:4416                           // 00000000B9C8: D86C1140 3B000015
	ds_read_b32 v62, v21 offset:6528                           // 00000000B9D0: D86C1980 3E000015
	ds_read_b32 v63, v21 offset:6592                           // 00000000B9D8: D86C19C0 3F000015
	ds_read_b32 v66, v21 offset:8704                           // 00000000B9E0: D86C2200 42000015
	ds_read_b32 v67, v21 offset:8768                           // 00000000B9E8: D86C2240 43000015
	ds_read_b32 v70, v21 offset:10880                          // 00000000B9F0: D86C2A80 46000015
	ds_read_b32 v71, v21 offset:10944                          // 00000000B9F8: D86C2AC0 47000015
	ds_read_b32 v74, v21 offset:13056                          // 00000000BA00: D86C3300 4A000015
	ds_read_b32 v75, v21 offset:13120                          // 00000000BA08: D86C3340 4B000015
	ds_read_b32 v78, v21 offset:15232                          // 00000000BA10: D86C3B80 4E000015
	ds_read_b32 v79, v21 offset:15296                          // 00000000BA18: D86C3BC0 4F000015
	ds_read_b32 v82, v21 offset:17408                          // 00000000BA20: D86C4400 52000015
	ds_read_b32 v83, v21 offset:17472                          // 00000000BA28: D86C4440 53000015
	ds_read_b32 v86, v21 offset:19584                          // 00000000BA30: D86C4C80 56000015
	ds_read_b32 v87, v21 offset:19648                          // 00000000BA38: D86C4CC0 57000015
	ds_read_b32 v90, v21 offset:21760                          // 00000000BA40: D86C5500 5A000015
	ds_read_b32 v91, v21 offset:21824                          // 00000000BA48: D86C5540 5B000015
	ds_read_b32 v94, v21 offset:23936                          // 00000000BA50: D86C5D80 5E000015
	ds_read_b32 v95, v21 offset:24000                          // 00000000BA58: D86C5DC0 5F000015
	ds_read_b32 v98, v21 offset:26112                          // 00000000BA60: D86C6600 62000015
	ds_read_b32 v99, v21 offset:26176                          // 00000000BA68: D86C6640 63000015
	ds_read_b32 v102, v21 offset:28288                         // 00000000BA70: D86C6E80 66000015
	ds_read_b32 v103, v21 offset:28352                         // 00000000BA78: D86C6EC0 67000015
	ds_read_b32 v106, v21 offset:30464                         // 00000000BA80: D86C7700 6A000015
	ds_read_b32 v107, v21 offset:30528                         // 00000000BA88: D86C7740 6B000015
	ds_read_b32 v110, v21 offset:32640                         // 00000000BA90: D86C7F80 6E000015
	ds_read_b32 v111, v21 offset:32704                         // 00000000BA98: D86C7FC0 6F000015
	s_waitcnt lgkmcnt(0)                                       // 00000000BAA0: BF8CC07F
	v_mov_b32_e32 v7, 0                                        // 00000000BAA4: 7E0E0280
	s_mov_b64 exec, s[36:37]                                   // 00000000BAA8: BEFE0124
	v_mov_b32_e32 v6, v36                                      // 00000000BAAC: 7E0C0324
	s_mov_b64 s[60:61], 0                                      // 00000000BAB0: BEBC0180
	v_readlane_b32 s82, v3, 0                                  // 00000000BAB4: D2890052 00010103
	s_and_b32 s82, s82, 0xffffff                               // 00000000BABC: 8652FF52 00FFFFFF
	s_cmp_lt_u32 s82, s66                                      // 00000000BAC4: BF0A4252
	s_cselect_b32 s20, s36, s60                                // 00000000BAC8: 85143C24
	v_readlane_b32 s82, v3, 1                                  // 00000000BACC: D2890052 00010303
	s_and_b32 s82, s82, 0xffffff                               // 00000000BAD4: 8652FF52 00FFFFFF
	s_cmp_lt_u32 s82, s66                                      // 00000000BADC: BF0A4252
	s_cselect_b32 s21, s36, s60                                // 00000000BAE0: 85153C24
	s_mov_b64 exec, s[20:21]                                   // 00000000BAE4: BEFE0114
	global_atomic_add_f32 v6, v50, s[8:9] offset:8             // 00000000BAE8: DD348008 00083206
	global_atomic_add_f32 v6, v54, s[8:9] offset:264           // 00000000BAF0: DD348108 00083606
	global_atomic_add_f32 v6, v58, s[8:9] offset:520           // 00000000BAF8: DD348208 00083A06
	global_atomic_add_f32 v6, v62, s[8:9] offset:776           // 00000000BB00: DD348308 00083E06
	global_atomic_add_f32 v6, v66, s[8:9] offset:1032          // 00000000BB08: DD348408 00084206
	global_atomic_add_f32 v6, v70, s[8:9] offset:1288          // 00000000BB10: DD348508 00084606
	global_atomic_add_f32 v6, v74, s[8:9] offset:1544          // 00000000BB18: DD348608 00084A06
	global_atomic_add_f32 v6, v78, s[8:9] offset:1800          // 00000000BB20: DD348708 00084E06
	s_mov_b64 exec, s[36:37]                                   // 00000000BB28: BEFE0124
	v_mov_b32_e32 v6, v37                                      // 00000000BB2C: 7E0C0325
	s_mov_b64 s[60:61], 0                                      // 00000000BB30: BEBC0180
	v_readlane_b32 s82, v3, 2                                  // 00000000BB34: D2890052 00010503
	s_and_b32 s82, s82, 0xffffff                               // 00000000BB3C: 8652FF52 00FFFFFF
	s_cmp_lt_u32 s82, s66                                      // 00000000BB44: BF0A4252
	s_cselect_b32 s20, s36, s60                                // 00000000BB48: 85143C24
	v_readlane_b32 s82, v3, 3                                  // 00000000BB4C: D2890052 00010703
	s_and_b32 s82, s82, 0xffffff                               // 00000000BB54: 8652FF52 00FFFFFF
	s_cmp_lt_u32 s82, s66                                      // 00000000BB5C: BF0A4252
	s_cselect_b32 s21, s36, s60                                // 00000000BB60: 85153C24
	s_mov_b64 exec, s[20:21]                                   // 00000000BB64: BEFE0114
	global_atomic_add_f32 v6, v51, s[8:9] offset:8             // 00000000BB68: DD348008 00083306
	global_atomic_add_f32 v6, v55, s[8:9] offset:264           // 00000000BB70: DD348108 00083706
	global_atomic_add_f32 v6, v59, s[8:9] offset:520           // 00000000BB78: DD348208 00083B06
	global_atomic_add_f32 v6, v63, s[8:9] offset:776           // 00000000BB80: DD348308 00083F06
	global_atomic_add_f32 v6, v67, s[8:9] offset:1032          // 00000000BB88: DD348408 00084306
	global_atomic_add_f32 v6, v71, s[8:9] offset:1288          // 00000000BB90: DD348508 00084706
	global_atomic_add_f32 v6, v75, s[8:9] offset:1544          // 00000000BB98: DD348608 00084B06
	global_atomic_add_f32 v6, v79, s[8:9] offset:1800          // 00000000BBA0: DD348708 00084F06
	s_mov_b64 exec, s[36:37]                                   // 00000000BBA8: BEFE0124
	v_mov_b32_e32 v6, v38                                      // 00000000BBAC: 7E0C0326
	s_mov_b64 s[60:61], 0                                      // 00000000BBB0: BEBC0180
	v_readlane_b32 s82, v3, 4                                  // 00000000BBB4: D2890052 00010903
	s_and_b32 s82, s82, 0xffffff                               // 00000000BBBC: 8652FF52 00FFFFFF
	s_cmp_lt_u32 s82, s66                                      // 00000000BBC4: BF0A4252
	s_cselect_b32 s20, s36, s60                                // 00000000BBC8: 85143C24
	v_readlane_b32 s82, v3, 5                                  // 00000000BBCC: D2890052 00010B03
	s_and_b32 s82, s82, 0xffffff                               // 00000000BBD4: 8652FF52 00FFFFFF
	s_cmp_lt_u32 s82, s66                                      // 00000000BBDC: BF0A4252
	s_cselect_b32 s21, s36, s60                                // 00000000BBE0: 85153C24
	s_mov_b64 exec, s[20:21]                                   // 00000000BBE4: BEFE0114
	global_atomic_add_f32 v6, v82, s[8:9] offset:8             // 00000000BBE8: DD348008 00085206
	global_atomic_add_f32 v6, v86, s[8:9] offset:264           // 00000000BBF0: DD348108 00085606
	global_atomic_add_f32 v6, v90, s[8:9] offset:520           // 00000000BBF8: DD348208 00085A06
	global_atomic_add_f32 v6, v94, s[8:9] offset:776           // 00000000BC00: DD348308 00085E06
	global_atomic_add_f32 v6, v98, s[8:9] offset:1032          // 00000000BC08: DD348408 00086206
	global_atomic_add_f32 v6, v102, s[8:9] offset:1288         // 00000000BC10: DD348508 00086606
	global_atomic_add_f32 v6, v106, s[8:9] offset:1544         // 00000000BC18: DD348608 00086A06
	global_atomic_add_f32 v6, v110, s[8:9] offset:1800         // 00000000BC20: DD348708 00086E06
	s_mov_b64 exec, s[36:37]                                   // 00000000BC28: BEFE0124
	v_mov_b32_e32 v6, v39                                      // 00000000BC2C: 7E0C0327
	s_mov_b64 s[60:61], 0                                      // 00000000BC30: BEBC0180
	v_readlane_b32 s82, v3, 6                                  // 00000000BC34: D2890052 00010D03
	s_and_b32 s82, s82, 0xffffff                               // 00000000BC3C: 8652FF52 00FFFFFF
	s_cmp_lt_u32 s82, s66                                      // 00000000BC44: BF0A4252
	s_cselect_b32 s20, s36, s60                                // 00000000BC48: 85143C24
	v_readlane_b32 s82, v3, 7                                  // 00000000BC4C: D2890052 00010F03
	s_and_b32 s82, s82, 0xffffff                               // 00000000BC54: 8652FF52 00FFFFFF
	s_cmp_lt_u32 s82, s66                                      // 00000000BC5C: BF0A4252
	s_cselect_b32 s21, s36, s60                                // 00000000BC60: 85153C24
	s_mov_b64 exec, s[20:21]                                   // 00000000BC64: BEFE0114
	global_atomic_add_f32 v6, v83, s[8:9] offset:8             // 00000000BC68: DD348008 00085306
	global_atomic_add_f32 v6, v87, s[8:9] offset:264           // 00000000BC70: DD348108 00085706
	global_atomic_add_f32 v6, v91, s[8:9] offset:520           // 00000000BC78: DD348208 00085B06
	global_atomic_add_f32 v6, v95, s[8:9] offset:776           // 00000000BC80: DD348308 00085F06
	global_atomic_add_f32 v6, v99, s[8:9] offset:1032          // 00000000BC88: DD348408 00086306
	global_atomic_add_f32 v6, v103, s[8:9] offset:1288         // 00000000BC90: DD348508 00086706
	global_atomic_add_f32 v6, v107, s[8:9] offset:1544         // 00000000BC98: DD348608 00086B06
	global_atomic_add_f32 v6, v111, s[8:9] offset:1800         // 00000000BCA0: DD348708 00086F06
	s_mov_b64 exec, s[36:37]                                   // 00000000BCA8: BEFE0124
	ds_write_b64 v20, v[112:113]                               // 00000000BCAC: D89A0000 00007014
	ds_write_b64 v20, v[116:117] offset:17408                  // 00000000BCB4: D89A4400 00007414
	ds_write_b64 v20, v[120:121] offset:2176                   // 00000000BCBC: D89A0880 00007814
	ds_write_b64 v20, v[124:125] offset:19584                  // 00000000BCC4: D89A4C80 00007C14
	ds_write_b64 v20, v[128:129] offset:4352                   // 00000000BCCC: D89A1100 00008014
	ds_write_b64 v20, v[132:133] offset:21760                  // 00000000BCD4: D89A5500 00008414
	ds_write_b64 v20, v[136:137] offset:6528                   // 00000000BCDC: D89A1980 00008814
	ds_write_b64 v20, v[140:141] offset:23936                  // 00000000BCE4: D89A5D80 00008C14
	ds_write_b64 v20, v[144:145] offset:8704                   // 00000000BCEC: D89A2200 00009014
	ds_write_b64 v20, v[148:149] offset:26112                  // 00000000BCF4: D89A6600 00009414
	ds_write_b64 v20, v[152:153] offset:10880                  // 00000000BCFC: D89A2A80 00009814
	ds_write_b64 v20, v[156:157] offset:28288                  // 00000000BD04: D89A6E80 00009C14
	ds_write_b64 v20, v[160:161] offset:13056                  // 00000000BD0C: D89A3300 0000A014
	ds_write_b64 v20, v[164:165] offset:30464                  // 00000000BD14: D89A7700 0000A414
	ds_write_b64 v20, v[168:169] offset:15232                  // 00000000BD1C: D89A3B80 0000A814
	ds_write_b64 v20, v[172:173] offset:32640                  // 00000000BD24: D89A7F80 0000AC14
	s_waitcnt lgkmcnt(0)                                       // 00000000BD2C: BF8CC07F
	s_barrier                                                  // 00000000BD30: BF8A0000
	ds_read_b32 v112, v21                                      // 00000000BD34: D86C0000 70000015
	ds_read_b32 v113, v21 offset:64                            // 00000000BD3C: D86C0040 71000015
	ds_read_b32 v116, v21 offset:2176                          // 00000000BD44: D86C0880 74000015
	ds_read_b32 v117, v21 offset:2240                          // 00000000BD4C: D86C08C0 75000015
	ds_read_b32 v120, v21 offset:4352                          // 00000000BD54: D86C1100 78000015
	ds_read_b32 v121, v21 offset:4416                          // 00000000BD5C: D86C1140 79000015
	ds_read_b32 v124, v21 offset:6528                          // 00000000BD64: D86C1980 7C000015
	ds_read_b32 v125, v21 offset:6592                          // 00000000BD6C: D86C19C0 7D000015
	ds_read_b32 v128, v21 offset:8704                          // 00000000BD74: D86C2200 80000015
	ds_read_b32 v129, v21 offset:8768                          // 00000000BD7C: D86C2240 81000015
	ds_read_b32 v132, v21 offset:10880                         // 00000000BD84: D86C2A80 84000015
	ds_read_b32 v133, v21 offset:10944                         // 00000000BD8C: D86C2AC0 85000015
	ds_read_b32 v136, v21 offset:13056                         // 00000000BD94: D86C3300 88000015
	ds_read_b32 v137, v21 offset:13120                         // 00000000BD9C: D86C3340 89000015
	ds_read_b32 v140, v21 offset:15232                         // 00000000BDA4: D86C3B80 8C000015
	ds_read_b32 v141, v21 offset:15296                         // 00000000BDAC: D86C3BC0 8D000015
	ds_read_b32 v144, v21 offset:17408                         // 00000000BDB4: D86C4400 90000015
	ds_read_b32 v145, v21 offset:17472                         // 00000000BDBC: D86C4440 91000015
	ds_read_b32 v148, v21 offset:19584                         // 00000000BDC4: D86C4C80 94000015
	ds_read_b32 v149, v21 offset:19648                         // 00000000BDCC: D86C4CC0 95000015
	ds_read_b32 v152, v21 offset:21760                         // 00000000BDD4: D86C5500 98000015
	ds_read_b32 v153, v21 offset:21824                         // 00000000BDDC: D86C5540 99000015
	ds_read_b32 v156, v21 offset:23936                         // 00000000BDE4: D86C5D80 9C000015
	ds_read_b32 v157, v21 offset:24000                         // 00000000BDEC: D86C5DC0 9D000015
	ds_read_b32 v160, v21 offset:26112                         // 00000000BDF4: D86C6600 A0000015
	ds_read_b32 v161, v21 offset:26176                         // 00000000BDFC: D86C6640 A1000015
	ds_read_b32 v164, v21 offset:28288                         // 00000000BE04: D86C6E80 A4000015
	ds_read_b32 v165, v21 offset:28352                         // 00000000BE0C: D86C6EC0 A5000015
	ds_read_b32 v168, v21 offset:30464                         // 00000000BE14: D86C7700 A8000015
	ds_read_b32 v169, v21 offset:30528                         // 00000000BE1C: D86C7740 A9000015
	ds_read_b32 v172, v21 offset:32640                         // 00000000BE24: D86C7F80 AC000015
	ds_read_b32 v173, v21 offset:32704                         // 00000000BE2C: D86C7FC0 AD000015
	s_mul_i32 s60, s65, 4                                      // 00000000BE34: 923C8441
	s_add_u32 s8, s60, s8                                      // 00000000BE38: 8008083C
	s_addc_u32 s9, 0, s9                                       // 00000000BE3C: 82090980
	s_waitcnt lgkmcnt(0)                                       // 00000000BE40: BF8CC07F
	v_mov_b32_e32 v7, 0                                        // 00000000BE44: 7E0E0280
	s_mov_b64 exec, s[36:37]                                   // 00000000BE48: BEFE0124
	v_mov_b32_e32 v6, v36                                      // 00000000BE4C: 7E0C0324
	s_mov_b64 s[60:61], 0                                      // 00000000BE50: BEBC0180
	v_readlane_b32 s82, v3, 0                                  // 00000000BE54: D2890052 00010103
	s_and_b32 s82, s82, 0xffffff                               // 00000000BE5C: 8652FF52 00FFFFFF
	s_cmp_lt_u32 s82, s66                                      // 00000000BE64: BF0A4252
	s_cselect_b32 s20, s36, s60                                // 00000000BE68: 85143C24
	v_readlane_b32 s82, v3, 1                                  // 00000000BE6C: D2890052 00010303
	s_and_b32 s82, s82, 0xffffff                               // 00000000BE74: 8652FF52 00FFFFFF
	s_cmp_lt_u32 s82, s66                                      // 00000000BE7C: BF0A4252
	s_cselect_b32 s21, s36, s60                                // 00000000BE80: 85153C24
	s_mov_b64 exec, s[20:21]                                   // 00000000BE84: BEFE0114
	global_atomic_add_f32 v6, v112, s[8:9]                     // 00000000BE88: DD348000 00087006
	global_atomic_add_f32 v6, v116, s[8:9] offset:256          // 00000000BE90: DD348100 00087406
	global_atomic_add_f32 v6, v120, s[8:9] offset:512          // 00000000BE98: DD348200 00087806
	global_atomic_add_f32 v6, v124, s[8:9] offset:768          // 00000000BEA0: DD348300 00087C06
	global_atomic_add_f32 v6, v128, s[8:9] offset:1024         // 00000000BEA8: DD348400 00088006
	global_atomic_add_f32 v6, v132, s[8:9] offset:1280         // 00000000BEB0: DD348500 00088406
	global_atomic_add_f32 v6, v136, s[8:9] offset:1536         // 00000000BEB8: DD348600 00088806
	global_atomic_add_f32 v6, v140, s[8:9] offset:1792         // 00000000BEC0: DD348700 00088C06
	s_mov_b64 exec, s[36:37]                                   // 00000000BEC8: BEFE0124
	v_mov_b32_e32 v6, v37                                      // 00000000BECC: 7E0C0325
	s_mov_b64 s[60:61], 0                                      // 00000000BED0: BEBC0180
	v_readlane_b32 s82, v3, 2                                  // 00000000BED4: D2890052 00010503
	s_and_b32 s82, s82, 0xffffff                               // 00000000BEDC: 8652FF52 00FFFFFF
	s_cmp_lt_u32 s82, s66                                      // 00000000BEE4: BF0A4252
	s_cselect_b32 s20, s36, s60                                // 00000000BEE8: 85143C24
	v_readlane_b32 s82, v3, 3                                  // 00000000BEEC: D2890052 00010703
	s_and_b32 s82, s82, 0xffffff                               // 00000000BEF4: 8652FF52 00FFFFFF
	s_cmp_lt_u32 s82, s66                                      // 00000000BEFC: BF0A4252
	s_cselect_b32 s21, s36, s60                                // 00000000BF00: 85153C24
	s_mov_b64 exec, s[20:21]                                   // 00000000BF04: BEFE0114
	global_atomic_add_f32 v6, v113, s[8:9]                     // 00000000BF08: DD348000 00087106
	global_atomic_add_f32 v6, v117, s[8:9] offset:256          // 00000000BF10: DD348100 00087506
	global_atomic_add_f32 v6, v121, s[8:9] offset:512          // 00000000BF18: DD348200 00087906
	global_atomic_add_f32 v6, v125, s[8:9] offset:768          // 00000000BF20: DD348300 00087D06
	global_atomic_add_f32 v6, v129, s[8:9] offset:1024         // 00000000BF28: DD348400 00088106
	global_atomic_add_f32 v6, v133, s[8:9] offset:1280         // 00000000BF30: DD348500 00088506
	global_atomic_add_f32 v6, v137, s[8:9] offset:1536         // 00000000BF38: DD348600 00088906
	global_atomic_add_f32 v6, v141, s[8:9] offset:1792         // 00000000BF40: DD348700 00088D06
	s_mov_b64 exec, s[36:37]                                   // 00000000BF48: BEFE0124
	v_mov_b32_e32 v6, v38                                      // 00000000BF4C: 7E0C0326
	s_mov_b64 s[60:61], 0                                      // 00000000BF50: BEBC0180
	v_readlane_b32 s82, v3, 4                                  // 00000000BF54: D2890052 00010903
	s_and_b32 s82, s82, 0xffffff                               // 00000000BF5C: 8652FF52 00FFFFFF
	s_cmp_lt_u32 s82, s66                                      // 00000000BF64: BF0A4252
	s_cselect_b32 s20, s36, s60                                // 00000000BF68: 85143C24
	v_readlane_b32 s82, v3, 5                                  // 00000000BF6C: D2890052 00010B03
	s_and_b32 s82, s82, 0xffffff                               // 00000000BF74: 8652FF52 00FFFFFF
	s_cmp_lt_u32 s82, s66                                      // 00000000BF7C: BF0A4252
	s_cselect_b32 s21, s36, s60                                // 00000000BF80: 85153C24
	s_mov_b64 exec, s[20:21]                                   // 00000000BF84: BEFE0114
	global_atomic_add_f32 v6, v144, s[8:9]                     // 00000000BF88: DD348000 00089006
	global_atomic_add_f32 v6, v148, s[8:9] offset:256          // 00000000BF90: DD348100 00089406
	global_atomic_add_f32 v6, v152, s[8:9] offset:512          // 00000000BF98: DD348200 00089806
	global_atomic_add_f32 v6, v156, s[8:9] offset:768          // 00000000BFA0: DD348300 00089C06
	global_atomic_add_f32 v6, v160, s[8:9] offset:1024         // 00000000BFA8: DD348400 0008A006
	global_atomic_add_f32 v6, v164, s[8:9] offset:1280         // 00000000BFB0: DD348500 0008A406
	global_atomic_add_f32 v6, v168, s[8:9] offset:1536         // 00000000BFB8: DD348600 0008A806
	global_atomic_add_f32 v6, v172, s[8:9] offset:1792         // 00000000BFC0: DD348700 0008AC06
	s_mov_b64 exec, s[36:37]                                   // 00000000BFC8: BEFE0124
	v_mov_b32_e32 v6, v39                                      // 00000000BFCC: 7E0C0327
	s_mov_b64 s[60:61], 0                                      // 00000000BFD0: BEBC0180
	v_readlane_b32 s82, v3, 6                                  // 00000000BFD4: D2890052 00010D03
	s_and_b32 s82, s82, 0xffffff                               // 00000000BFDC: 8652FF52 00FFFFFF
	s_cmp_lt_u32 s82, s66                                      // 00000000BFE4: BF0A4252
	s_cselect_b32 s20, s36, s60                                // 00000000BFE8: 85143C24
	v_readlane_b32 s82, v3, 7                                  // 00000000BFEC: D2890052 00010F03
	s_and_b32 s82, s82, 0xffffff                               // 00000000BFF4: 8652FF52 00FFFFFF
	s_cmp_lt_u32 s82, s66                                      // 00000000BFFC: BF0A4252
	s_cselect_b32 s21, s36, s60                                // 00000000C000: 85153C24
	s_mov_b64 exec, s[20:21]                                   // 00000000C004: BEFE0114
	global_atomic_add_f32 v6, v145, s[8:9]                     // 00000000C008: DD348000 00089106
	global_atomic_add_f32 v6, v149, s[8:9] offset:256          // 00000000C010: DD348100 00089506
	global_atomic_add_f32 v6, v153, s[8:9] offset:512          // 00000000C018: DD348200 00089906
	global_atomic_add_f32 v6, v157, s[8:9] offset:768          // 00000000C020: DD348300 00089D06
	global_atomic_add_f32 v6, v161, s[8:9] offset:1024         // 00000000C028: DD348400 0008A106
	global_atomic_add_f32 v6, v165, s[8:9] offset:1280         // 00000000C030: DD348500 0008A506
	global_atomic_add_f32 v6, v169, s[8:9] offset:1536         // 00000000C038: DD348600 0008A906
	global_atomic_add_f32 v6, v173, s[8:9] offset:1792         // 00000000C040: DD348700 0008AD06
	s_mov_b64 exec, s[36:37]                                   // 00000000C048: BEFE0124
	ds_write_b64 v20, v[114:115]                               // 00000000C04C: D89A0000 00007214
	ds_write_b64 v20, v[118:119] offset:17408                  // 00000000C054: D89A4400 00007614
	ds_write_b64 v20, v[122:123] offset:2176                   // 00000000C05C: D89A0880 00007A14
	ds_write_b64 v20, v[126:127] offset:19584                  // 00000000C064: D89A4C80 00007E14
	ds_write_b64 v20, v[130:131] offset:4352                   // 00000000C06C: D89A1100 00008214
	ds_write_b64 v20, v[134:135] offset:21760                  // 00000000C074: D89A5500 00008614
	ds_write_b64 v20, v[138:139] offset:6528                   // 00000000C07C: D89A1980 00008A14
	ds_write_b64 v20, v[142:143] offset:23936                  // 00000000C084: D89A5D80 00008E14
	ds_write_b64 v20, v[146:147] offset:8704                   // 00000000C08C: D89A2200 00009214
	ds_write_b64 v20, v[150:151] offset:26112                  // 00000000C094: D89A6600 00009614
	ds_write_b64 v20, v[154:155] offset:10880                  // 00000000C09C: D89A2A80 00009A14
	ds_write_b64 v20, v[158:159] offset:28288                  // 00000000C0A4: D89A6E80 00009E14
	ds_write_b64 v20, v[162:163] offset:13056                  // 00000000C0AC: D89A3300 0000A214
	ds_write_b64 v20, v[166:167] offset:30464                  // 00000000C0B4: D89A7700 0000A614
	ds_write_b64 v20, v[170:171] offset:15232                  // 00000000C0BC: D89A3B80 0000AA14
	ds_write_b64 v20, v[174:175] offset:32640                  // 00000000C0C4: D89A7F80 0000AE14
	s_waitcnt lgkmcnt(0)                                       // 00000000C0CC: BF8CC07F
	s_barrier                                                  // 00000000C0D0: BF8A0000
	ds_read_b32 v114, v21                                      // 00000000C0D4: D86C0000 72000015
	ds_read_b32 v115, v21 offset:64                            // 00000000C0DC: D86C0040 73000015
	ds_read_b32 v118, v21 offset:2176                          // 00000000C0E4: D86C0880 76000015
	ds_read_b32 v119, v21 offset:2240                          // 00000000C0EC: D86C08C0 77000015
	ds_read_b32 v122, v21 offset:4352                          // 00000000C0F4: D86C1100 7A000015
	ds_read_b32 v123, v21 offset:4416                          // 00000000C0FC: D86C1140 7B000015
	ds_read_b32 v126, v21 offset:6528                          // 00000000C104: D86C1980 7E000015
	ds_read_b32 v127, v21 offset:6592                          // 00000000C10C: D86C19C0 7F000015
	ds_read_b32 v130, v21 offset:8704                          // 00000000C114: D86C2200 82000015
	ds_read_b32 v131, v21 offset:8768                          // 00000000C11C: D86C2240 83000015
	ds_read_b32 v134, v21 offset:10880                         // 00000000C124: D86C2A80 86000015
	ds_read_b32 v135, v21 offset:10944                         // 00000000C12C: D86C2AC0 87000015
	ds_read_b32 v138, v21 offset:13056                         // 00000000C134: D86C3300 8A000015
	ds_read_b32 v139, v21 offset:13120                         // 00000000C13C: D86C3340 8B000015
	ds_read_b32 v142, v21 offset:15232                         // 00000000C144: D86C3B80 8E000015
	ds_read_b32 v143, v21 offset:15296                         // 00000000C14C: D86C3BC0 8F000015
	ds_read_b32 v146, v21 offset:17408                         // 00000000C154: D86C4400 92000015
	ds_read_b32 v147, v21 offset:17472                         // 00000000C15C: D86C4440 93000015
	ds_read_b32 v150, v21 offset:19584                         // 00000000C164: D86C4C80 96000015
	ds_read_b32 v151, v21 offset:19648                         // 00000000C16C: D86C4CC0 97000015
	ds_read_b32 v154, v21 offset:21760                         // 00000000C174: D86C5500 9A000015
	ds_read_b32 v155, v21 offset:21824                         // 00000000C17C: D86C5540 9B000015
	ds_read_b32 v158, v21 offset:23936                         // 00000000C184: D86C5D80 9E000015
	ds_read_b32 v159, v21 offset:24000                         // 00000000C18C: D86C5DC0 9F000015
	ds_read_b32 v162, v21 offset:26112                         // 00000000C194: D86C6600 A2000015
	ds_read_b32 v163, v21 offset:26176                         // 00000000C19C: D86C6640 A3000015
	ds_read_b32 v166, v21 offset:28288                         // 00000000C1A4: D86C6E80 A6000015
	ds_read_b32 v167, v21 offset:28352                         // 00000000C1AC: D86C6EC0 A7000015
	ds_read_b32 v170, v21 offset:30464                         // 00000000C1B4: D86C7700 AA000015
	ds_read_b32 v171, v21 offset:30528                         // 00000000C1BC: D86C7740 AB000015
	ds_read_b32 v174, v21 offset:32640                         // 00000000C1C4: D86C7F80 AE000015
	ds_read_b32 v175, v21 offset:32704                         // 00000000C1CC: D86C7FC0 AF000015
	s_waitcnt lgkmcnt(0)                                       // 00000000C1D4: BF8CC07F
	v_mov_b32_e32 v7, 0                                        // 00000000C1D8: 7E0E0280
	s_mov_b64 exec, s[36:37]                                   // 00000000C1DC: BEFE0124
	v_mov_b32_e32 v6, v36                                      // 00000000C1E0: 7E0C0324
	s_mov_b64 s[60:61], 0                                      // 00000000C1E4: BEBC0180
	v_readlane_b32 s82, v3, 0                                  // 00000000C1E8: D2890052 00010103
	s_and_b32 s82, s82, 0xffffff                               // 00000000C1F0: 8652FF52 00FFFFFF
	s_cmp_lt_u32 s82, s66                                      // 00000000C1F8: BF0A4252
	s_cselect_b32 s20, s36, s60                                // 00000000C1FC: 85143C24
	v_readlane_b32 s82, v3, 1                                  // 00000000C200: D2890052 00010303
	s_and_b32 s82, s82, 0xffffff                               // 00000000C208: 8652FF52 00FFFFFF
	s_cmp_lt_u32 s82, s66                                      // 00000000C210: BF0A4252
	s_cselect_b32 s21, s36, s60                                // 00000000C214: 85153C24
	s_mov_b64 exec, s[20:21]                                   // 00000000C218: BEFE0114
	global_atomic_add_f32 v6, v114, s[8:9] offset:8            // 00000000C21C: DD348008 00087206
	global_atomic_add_f32 v6, v118, s[8:9] offset:264          // 00000000C224: DD348108 00087606
	global_atomic_add_f32 v6, v122, s[8:9] offset:520          // 00000000C22C: DD348208 00087A06
	global_atomic_add_f32 v6, v126, s[8:9] offset:776          // 00000000C234: DD348308 00087E06
	global_atomic_add_f32 v6, v130, s[8:9] offset:1032         // 00000000C23C: DD348408 00088206
	global_atomic_add_f32 v6, v134, s[8:9] offset:1288         // 00000000C244: DD348508 00088606
	global_atomic_add_f32 v6, v138, s[8:9] offset:1544         // 00000000C24C: DD348608 00088A06
	global_atomic_add_f32 v6, v142, s[8:9] offset:1800         // 00000000C254: DD348708 00088E06
	s_mov_b64 exec, s[36:37]                                   // 00000000C25C: BEFE0124
	v_mov_b32_e32 v6, v37                                      // 00000000C260: 7E0C0325
	s_mov_b64 s[60:61], 0                                      // 00000000C264: BEBC0180
	v_readlane_b32 s82, v3, 2                                  // 00000000C268: D2890052 00010503
	s_and_b32 s82, s82, 0xffffff                               // 00000000C270: 8652FF52 00FFFFFF
	s_cmp_lt_u32 s82, s66                                      // 00000000C278: BF0A4252
	s_cselect_b32 s20, s36, s60                                // 00000000C27C: 85143C24
	v_readlane_b32 s82, v3, 3                                  // 00000000C280: D2890052 00010703
	s_and_b32 s82, s82, 0xffffff                               // 00000000C288: 8652FF52 00FFFFFF
	s_cmp_lt_u32 s82, s66                                      // 00000000C290: BF0A4252
	s_cselect_b32 s21, s36, s60                                // 00000000C294: 85153C24
	s_mov_b64 exec, s[20:21]                                   // 00000000C298: BEFE0114
	global_atomic_add_f32 v6, v115, s[8:9] offset:8            // 00000000C29C: DD348008 00087306
	global_atomic_add_f32 v6, v119, s[8:9] offset:264          // 00000000C2A4: DD348108 00087706
	global_atomic_add_f32 v6, v123, s[8:9] offset:520          // 00000000C2AC: DD348208 00087B06
	global_atomic_add_f32 v6, v127, s[8:9] offset:776          // 00000000C2B4: DD348308 00087F06
	global_atomic_add_f32 v6, v131, s[8:9] offset:1032         // 00000000C2BC: DD348408 00088306
	global_atomic_add_f32 v6, v135, s[8:9] offset:1288         // 00000000C2C4: DD348508 00088706
	global_atomic_add_f32 v6, v139, s[8:9] offset:1544         // 00000000C2CC: DD348608 00088B06
	global_atomic_add_f32 v6, v143, s[8:9] offset:1800         // 00000000C2D4: DD348708 00088F06
	s_mov_b64 exec, s[36:37]                                   // 00000000C2DC: BEFE0124
	v_mov_b32_e32 v6, v38                                      // 00000000C2E0: 7E0C0326
	s_mov_b64 s[60:61], 0                                      // 00000000C2E4: BEBC0180
	v_readlane_b32 s82, v3, 4                                  // 00000000C2E8: D2890052 00010903
	s_and_b32 s82, s82, 0xffffff                               // 00000000C2F0: 8652FF52 00FFFFFF
	s_cmp_lt_u32 s82, s66                                      // 00000000C2F8: BF0A4252
	s_cselect_b32 s20, s36, s60                                // 00000000C2FC: 85143C24
	v_readlane_b32 s82, v3, 5                                  // 00000000C300: D2890052 00010B03
	s_and_b32 s82, s82, 0xffffff                               // 00000000C308: 8652FF52 00FFFFFF
	s_cmp_lt_u32 s82, s66                                      // 00000000C310: BF0A4252
	s_cselect_b32 s21, s36, s60                                // 00000000C314: 85153C24
	s_mov_b64 exec, s[20:21]                                   // 00000000C318: BEFE0114
	global_atomic_add_f32 v6, v146, s[8:9] offset:8            // 00000000C31C: DD348008 00089206
	global_atomic_add_f32 v6, v150, s[8:9] offset:264          // 00000000C324: DD348108 00089606
	global_atomic_add_f32 v6, v154, s[8:9] offset:520          // 00000000C32C: DD348208 00089A06
	global_atomic_add_f32 v6, v158, s[8:9] offset:776          // 00000000C334: DD348308 00089E06
	global_atomic_add_f32 v6, v162, s[8:9] offset:1032         // 00000000C33C: DD348408 0008A206
	global_atomic_add_f32 v6, v166, s[8:9] offset:1288         // 00000000C344: DD348508 0008A606
	global_atomic_add_f32 v6, v170, s[8:9] offset:1544         // 00000000C34C: DD348608 0008AA06
	global_atomic_add_f32 v6, v174, s[8:9] offset:1800         // 00000000C354: DD348708 0008AE06
	s_mov_b64 exec, s[36:37]                                   // 00000000C35C: BEFE0124
	v_mov_b32_e32 v6, v39                                      // 00000000C360: 7E0C0327
	s_mov_b64 s[60:61], 0                                      // 00000000C364: BEBC0180
	v_readlane_b32 s82, v3, 6                                  // 00000000C368: D2890052 00010D03
	s_and_b32 s82, s82, 0xffffff                               // 00000000C370: 8652FF52 00FFFFFF
	s_cmp_lt_u32 s82, s66                                      // 00000000C378: BF0A4252
	s_cselect_b32 s20, s36, s60                                // 00000000C37C: 85143C24
	v_readlane_b32 s82, v3, 7                                  // 00000000C380: D2890052 00010F03
	s_and_b32 s82, s82, 0xffffff                               // 00000000C388: 8652FF52 00FFFFFF
	s_cmp_lt_u32 s82, s66                                      // 00000000C390: BF0A4252
	s_cselect_b32 s21, s36, s60                                // 00000000C394: 85153C24
	s_mov_b64 exec, s[20:21]                                   // 00000000C398: BEFE0114
	global_atomic_add_f32 v6, v147, s[8:9] offset:8            // 00000000C39C: DD348008 00089306
	global_atomic_add_f32 v6, v151, s[8:9] offset:264          // 00000000C3A4: DD348108 00089706
	global_atomic_add_f32 v6, v155, s[8:9] offset:520          // 00000000C3AC: DD348208 00089B06
	global_atomic_add_f32 v6, v159, s[8:9] offset:776          // 00000000C3B4: DD348308 00089F06
	global_atomic_add_f32 v6, v163, s[8:9] offset:1032         // 00000000C3BC: DD348408 0008A306
	global_atomic_add_f32 v6, v167, s[8:9] offset:1288         // 00000000C3C4: DD348508 0008A706
	global_atomic_add_f32 v6, v171, s[8:9] offset:1544         // 00000000C3CC: DD348608 0008AB06
	global_atomic_add_f32 v6, v175, s[8:9] offset:1800         // 00000000C3D4: DD348708 0008AF06
	s_mov_b64 exec, s[36:37]                                   // 00000000C3DC: BEFE0124
	s_branch label_267C                                        // 00000000C3E0: BF820000

000000000000c3e4 <label_267C>:
	s_waitcnt vmcnt(0) expcnt(0) lgkmcnt(0)                    // 00000000C3E4: BF8C0000
	s_endpgm                                                   // 00000000C3E8: BF810000
